;; amdgpu-corpus repo=ROCm/rocFFT kind=compiled arch=gfx950 opt=O3
	.text
	.amdgcn_target "amdgcn-amd-amdhsa--gfx950"
	.amdhsa_code_object_version 6
	.protected	fft_rtc_fwd_len3888_factors_16_3_3_3_3_3_wgs_324_tpt_324_halfLds_dp_ip_CI_unitstride_sbrr_R2C_dirReg ; -- Begin function fft_rtc_fwd_len3888_factors_16_3_3_3_3_3_wgs_324_tpt_324_halfLds_dp_ip_CI_unitstride_sbrr_R2C_dirReg
	.globl	fft_rtc_fwd_len3888_factors_16_3_3_3_3_3_wgs_324_tpt_324_halfLds_dp_ip_CI_unitstride_sbrr_R2C_dirReg
	.p2align	8
	.type	fft_rtc_fwd_len3888_factors_16_3_3_3_3_3_wgs_324_tpt_324_halfLds_dp_ip_CI_unitstride_sbrr_R2C_dirReg,@function
fft_rtc_fwd_len3888_factors_16_3_3_3_3_3_wgs_324_tpt_324_halfLds_dp_ip_CI_unitstride_sbrr_R2C_dirReg: ; @fft_rtc_fwd_len3888_factors_16_3_3_3_3_3_wgs_324_tpt_324_halfLds_dp_ip_CI_unitstride_sbrr_R2C_dirReg
; %bb.0:
	s_load_dwordx2 s[8:9], s[0:1], 0x50
	s_load_dwordx4 s[4:7], s[0:1], 0x0
	s_load_dwordx2 s[10:11], s[0:1], 0x18
	v_mul_u32_u24_e32 v1, 0x195, v0
	v_lshrrev_b32_e32 v1, 17, v1
	v_add_u32_e32 v6, s2, v1
	v_mov_b32_e32 v4, 0
	s_waitcnt lgkmcnt(0)
	v_cmp_lt_u64_e64 s[2:3], s[6:7], 2
	v_mov_b32_e32 v7, v4
	s_and_b64 vcc, exec, s[2:3]
	v_mov_b64_e32 v[2:3], 0
	s_cbranch_vccnz .LBB0_8
; %bb.1:
	s_load_dwordx2 s[2:3], s[0:1], 0x10
	s_add_u32 s12, s10, 8
	s_addc_u32 s13, s11, 0
	s_mov_b64 s[14:15], 1
	v_mov_b64_e32 v[2:3], 0
	s_waitcnt lgkmcnt(0)
	s_add_u32 s16, s2, 8
	s_addc_u32 s17, s3, 0
.LBB0_2:                                ; =>This Inner Loop Header: Depth=1
	s_load_dwordx2 s[18:19], s[16:17], 0x0
                                        ; implicit-def: $vgpr8_vgpr9
	s_waitcnt lgkmcnt(0)
	v_or_b32_e32 v5, s19, v7
	v_cmp_ne_u64_e32 vcc, 0, v[4:5]
	s_and_saveexec_b64 s[2:3], vcc
	s_xor_b64 s[20:21], exec, s[2:3]
	s_cbranch_execz .LBB0_4
; %bb.3:                                ;   in Loop: Header=BB0_2 Depth=1
	v_cvt_f32_u32_e32 v1, s18
	v_cvt_f32_u32_e32 v5, s19
	s_sub_u32 s2, 0, s18
	s_subb_u32 s3, 0, s19
	v_fmac_f32_e32 v1, 0x4f800000, v5
	v_rcp_f32_e32 v1, v1
	s_nop 0
	v_mul_f32_e32 v1, 0x5f7ffffc, v1
	v_mul_f32_e32 v5, 0x2f800000, v1
	v_trunc_f32_e32 v5, v5
	v_fmac_f32_e32 v1, 0xcf800000, v5
	v_cvt_u32_f32_e32 v5, v5
	v_cvt_u32_f32_e32 v1, v1
	v_mul_lo_u32 v8, s2, v5
	v_mul_hi_u32 v10, s2, v1
	v_mul_lo_u32 v9, s3, v1
	v_add_u32_e32 v10, v10, v8
	v_mul_lo_u32 v12, s2, v1
	v_add_u32_e32 v13, v10, v9
	v_mul_hi_u32 v8, v1, v12
	v_mul_hi_u32 v11, v1, v13
	v_mul_lo_u32 v10, v1, v13
	v_mov_b32_e32 v9, v4
	v_lshl_add_u64 v[8:9], v[8:9], 0, v[10:11]
	v_mul_hi_u32 v11, v5, v12
	v_mul_lo_u32 v12, v5, v12
	v_add_co_u32_e32 v8, vcc, v8, v12
	v_mul_hi_u32 v10, v5, v13
	s_nop 0
	v_addc_co_u32_e32 v8, vcc, v9, v11, vcc
	v_mov_b32_e32 v9, v4
	s_nop 0
	v_addc_co_u32_e32 v11, vcc, 0, v10, vcc
	v_mul_lo_u32 v10, v5, v13
	v_lshl_add_u64 v[8:9], v[8:9], 0, v[10:11]
	v_add_co_u32_e32 v1, vcc, v1, v8
	v_mul_lo_u32 v10, s2, v1
	s_nop 0
	v_addc_co_u32_e32 v5, vcc, v5, v9, vcc
	v_mul_lo_u32 v8, s2, v5
	v_mul_hi_u32 v9, s2, v1
	v_add_u32_e32 v8, v9, v8
	v_mul_lo_u32 v9, s3, v1
	v_add_u32_e32 v12, v8, v9
	v_mul_hi_u32 v14, v5, v10
	v_mul_lo_u32 v15, v5, v10
	v_mul_hi_u32 v9, v1, v12
	v_mul_lo_u32 v8, v1, v12
	v_mul_hi_u32 v10, v1, v10
	v_mov_b32_e32 v11, v4
	v_lshl_add_u64 v[8:9], v[10:11], 0, v[8:9]
	v_add_co_u32_e32 v8, vcc, v8, v15
	v_mul_hi_u32 v13, v5, v12
	s_nop 0
	v_addc_co_u32_e32 v8, vcc, v9, v14, vcc
	v_mul_lo_u32 v10, v5, v12
	s_nop 0
	v_addc_co_u32_e32 v11, vcc, 0, v13, vcc
	v_mov_b32_e32 v9, v4
	v_lshl_add_u64 v[8:9], v[8:9], 0, v[10:11]
	v_add_co_u32_e32 v1, vcc, v1, v8
	v_mul_hi_u32 v10, v6, v1
	s_nop 0
	v_addc_co_u32_e32 v5, vcc, v5, v9, vcc
	v_mad_u64_u32 v[8:9], s[2:3], v6, v5, 0
	v_mov_b32_e32 v11, v4
	v_lshl_add_u64 v[8:9], v[10:11], 0, v[8:9]
	v_mad_u64_u32 v[12:13], s[2:3], v7, v1, 0
	v_add_co_u32_e32 v1, vcc, v8, v12
	v_mad_u64_u32 v[10:11], s[2:3], v7, v5, 0
	s_nop 0
	v_addc_co_u32_e32 v8, vcc, v9, v13, vcc
	v_mov_b32_e32 v9, v4
	s_nop 0
	v_addc_co_u32_e32 v11, vcc, 0, v11, vcc
	v_lshl_add_u64 v[8:9], v[8:9], 0, v[10:11]
	v_mul_lo_u32 v1, s19, v8
	v_mul_lo_u32 v5, s18, v9
	v_mad_u64_u32 v[10:11], s[2:3], s18, v8, 0
	v_add3_u32 v1, v11, v5, v1
	v_sub_u32_e32 v5, v7, v1
	v_mov_b32_e32 v11, s19
	v_sub_co_u32_e32 v14, vcc, v6, v10
	v_lshl_add_u64 v[12:13], v[8:9], 0, 1
	s_nop 0
	v_subb_co_u32_e64 v5, s[2:3], v5, v11, vcc
	v_subrev_co_u32_e64 v10, s[2:3], s18, v14
	v_subb_co_u32_e32 v1, vcc, v7, v1, vcc
	s_nop 0
	v_subbrev_co_u32_e64 v5, s[2:3], 0, v5, s[2:3]
	v_cmp_le_u32_e64 s[2:3], s19, v5
	v_cmp_le_u32_e32 vcc, s19, v1
	s_nop 0
	v_cndmask_b32_e64 v11, 0, -1, s[2:3]
	v_cmp_le_u32_e64 s[2:3], s18, v10
	s_nop 1
	v_cndmask_b32_e64 v10, 0, -1, s[2:3]
	v_cmp_eq_u32_e64 s[2:3], s19, v5
	s_nop 1
	v_cndmask_b32_e64 v5, v11, v10, s[2:3]
	v_lshl_add_u64 v[10:11], v[8:9], 0, 2
	v_cmp_ne_u32_e64 s[2:3], 0, v5
	s_nop 1
	v_cndmask_b32_e64 v5, v13, v11, s[2:3]
	v_cndmask_b32_e64 v11, 0, -1, vcc
	v_cmp_le_u32_e32 vcc, s18, v14
	s_nop 1
	v_cndmask_b32_e64 v13, 0, -1, vcc
	v_cmp_eq_u32_e32 vcc, s19, v1
	s_nop 1
	v_cndmask_b32_e32 v1, v11, v13, vcc
	v_cmp_ne_u32_e32 vcc, 0, v1
	v_cndmask_b32_e64 v1, v12, v10, s[2:3]
	s_nop 0
	v_cndmask_b32_e32 v9, v9, v5, vcc
	v_cndmask_b32_e32 v8, v8, v1, vcc
.LBB0_4:                                ;   in Loop: Header=BB0_2 Depth=1
	s_andn2_saveexec_b64 s[2:3], s[20:21]
	s_cbranch_execz .LBB0_6
; %bb.5:                                ;   in Loop: Header=BB0_2 Depth=1
	v_cvt_f32_u32_e32 v1, s18
	s_sub_i32 s20, 0, s18
	v_rcp_iflag_f32_e32 v1, v1
	s_nop 0
	v_mul_f32_e32 v1, 0x4f7ffffe, v1
	v_cvt_u32_f32_e32 v1, v1
	v_mul_lo_u32 v5, s20, v1
	v_mul_hi_u32 v5, v1, v5
	v_add_u32_e32 v1, v1, v5
	v_mul_hi_u32 v1, v6, v1
	v_mul_lo_u32 v5, v1, s18
	v_sub_u32_e32 v5, v6, v5
	v_add_u32_e32 v8, 1, v1
	v_subrev_u32_e32 v9, s18, v5
	v_cmp_le_u32_e32 vcc, s18, v5
	s_nop 1
	v_cndmask_b32_e32 v5, v5, v9, vcc
	v_cndmask_b32_e32 v1, v1, v8, vcc
	v_add_u32_e32 v8, 1, v1
	v_cmp_le_u32_e32 vcc, s18, v5
	v_mov_b32_e32 v9, v4
	s_nop 0
	v_cndmask_b32_e32 v8, v1, v8, vcc
.LBB0_6:                                ;   in Loop: Header=BB0_2 Depth=1
	s_or_b64 exec, exec, s[2:3]
	v_mad_u64_u32 v[10:11], s[2:3], v8, s18, 0
	s_load_dwordx2 s[2:3], s[12:13], 0x0
	v_mul_lo_u32 v1, v9, s18
	v_mul_lo_u32 v5, v8, s19
	v_add3_u32 v1, v11, v5, v1
	v_sub_co_u32_e32 v5, vcc, v6, v10
	s_add_u32 s14, s14, 1
	s_nop 0
	v_subb_co_u32_e32 v1, vcc, v7, v1, vcc
	s_addc_u32 s15, s15, 0
	s_waitcnt lgkmcnt(0)
	v_mul_lo_u32 v1, s2, v1
	v_mul_lo_u32 v6, s3, v5
	v_mad_u64_u32 v[2:3], s[2:3], s2, v5, v[2:3]
	s_add_u32 s12, s12, 8
	v_add3_u32 v3, v6, v3, v1
	s_addc_u32 s13, s13, 0
	v_mov_b64_e32 v[6:7], s[6:7]
	s_add_u32 s16, s16, 8
	v_cmp_ge_u64_e32 vcc, s[14:15], v[6:7]
	s_addc_u32 s17, s17, 0
	s_cbranch_vccnz .LBB0_9
; %bb.7:                                ;   in Loop: Header=BB0_2 Depth=1
	v_mov_b64_e32 v[6:7], v[8:9]
	s_branch .LBB0_2
.LBB0_8:
	v_mov_b64_e32 v[8:9], v[6:7]
.LBB0_9:
	s_lshl_b64 s[2:3], s[6:7], 3
	s_add_u32 s2, s10, s2
	s_addc_u32 s3, s11, s3
	s_load_dwordx2 s[6:7], s[2:3], 0x0
	s_load_dwordx2 s[10:11], s[0:1], 0x20
	s_waitcnt lgkmcnt(0)
	v_mul_lo_u32 v1, s6, v9
	v_mul_lo_u32 v4, s7, v8
	v_mad_u64_u32 v[2:3], s[0:1], s6, v8, v[2:3]
	v_add3_u32 v3, v4, v3, v1
	v_mul_hi_u32_u24_e32 v1, 0xca4588, v0
	v_mul_u32_u24_e32 v1, 0x144, v1
	v_sub_u32_e32 v66, v0, v1
	v_cmp_gt_u64_e64 s[0:1], s[10:11], v[8:9]
	v_lshl_add_u64 v[64:65], v[2:3], 4, s[8:9]
	v_lshl_add_u32 v70, v66, 4, 0
	s_and_saveexec_b64 s[2:3], s[0:1]
	s_cbranch_execz .LBB0_11
; %bb.10:
	v_mov_b32_e32 v67, 0
	v_lshl_add_u64 v[40:41], v[66:67], 4, v[64:65]
	v_add_co_u32_e32 v8, vcc, 0x1000, v40
	s_nop 1
	v_addc_co_u32_e32 v9, vcc, 0, v41, vcc
	v_add_co_u32_e32 v16, vcc, 0x2000, v40
	global_load_dwordx4 v[0:3], v[40:41], off
	global_load_dwordx4 v[4:7], v[8:9], off offset:1088
	v_addc_co_u32_e32 v17, vcc, 0, v41, vcc
	v_add_co_u32_e32 v18, vcc, 0x3000, v40
	s_nop 1
	v_addc_co_u32_e32 v19, vcc, 0, v41, vcc
	v_add_co_u32_e32 v24, vcc, 0x5000, v40
	global_load_dwordx4 v[8:11], v[16:17], off offset:2176
	global_load_dwordx4 v[12:15], v[18:19], off offset:3264
	v_addc_co_u32_e32 v25, vcc, 0, v41, vcc
	v_add_co_u32_e32 v26, vcc, 0x6000, v40
	s_nop 1
	v_addc_co_u32_e32 v27, vcc, 0, v41, vcc
	v_add_co_u32_e32 v32, vcc, 0x7000, v40
	global_load_dwordx4 v[16:19], v[24:25], off offset:256
	;; [unrolled: 7-line block ×4, first 2 shown]
	global_load_dwordx4 v[36:39], v[44:45], off offset:1600
	v_addc_co_u32_e32 v49, vcc, 0, v41, vcc
	v_add_co_u32_e32 v50, vcc, 0xd000, v40
	s_nop 1
	v_addc_co_u32_e32 v51, vcc, 0, v41, vcc
	global_load_dwordx4 v[40:43], v[48:49], off offset:2688
	global_load_dwordx4 v[44:47], v[50:51], off offset:3776
	s_waitcnt vmcnt(11)
	ds_write_b128 v70, v[0:3]
	s_waitcnt vmcnt(10)
	ds_write_b128 v70, v[4:7] offset:5184
	s_waitcnt vmcnt(9)
	ds_write_b128 v70, v[8:11] offset:10368
	;; [unrolled: 2-line block ×11, first 2 shown]
.LBB0_11:
	s_or_b64 exec, exec, s[2:3]
	s_waitcnt lgkmcnt(0)
	s_barrier
	ds_read_b128 v[24:27], v70 offset:3888
	ds_read_b128 v[0:3], v70 offset:7776
	;; [unrolled: 1-line block ×14, first 2 shown]
	ds_read_b128 v[12:15], v70
	ds_read_b128 v[52:55], v70 offset:58320
	s_movk_i32 s2, 0xf3
	v_cmp_gt_u32_e32 vcc, s2, v66
	s_waitcnt lgkmcnt(0)
	s_barrier
	s_and_saveexec_b64 s[2:3], vcc
	s_cbranch_execz .LBB0_13
; %bb.12:
	v_add_f64 v[58:59], v[2:3], -v[58:59]
	v_add_f64 v[56:57], v[0:1], -v[56:57]
	;; [unrolled: 1-line block ×16, first 2 shown]
	v_fma_f64 v[26:27], v[26:27], 2.0, -v[42:43]
	v_fma_f64 v[24:25], v[24:25], 2.0, -v[40:41]
	v_fma_f64 v[30:31], v[30:31], 2.0, -v[44:45]
	v_fma_f64 v[28:29], v[28:29], 2.0, -v[68:69]
	v_fma_f64 v[16:17], v[16:17], 2.0, -v[48:49]
	v_fma_f64 v[18:19], v[18:19], 2.0, -v[50:51]
	v_fma_f64 v[20:21], v[20:21], 2.0, -v[52:53]
	v_fma_f64 v[22:23], v[22:23], 2.0, -v[54:55]
	v_fma_f64 v[14:15], v[14:15], 2.0, -v[34:35]
	v_fma_f64 v[12:13], v[12:13], 2.0, -v[32:33]
	v_fma_f64 v[10:11], v[10:11], 2.0, -v[36:37]
	v_fma_f64 v[8:9], v[8:9], 2.0, -v[46:47]
	v_fma_f64 v[0:1], v[0:1], 2.0, -v[56:57]
	v_fma_f64 v[2:3], v[2:3], 2.0, -v[58:59]
	v_fma_f64 v[4:5], v[4:5], 2.0, -v[60:61]
	v_fma_f64 v[6:7], v[6:7], 2.0, -v[62:63]
	v_add_f64 v[38:39], v[14:15], -v[10:11]
	v_add_f64 v[72:73], v[0:1], -v[4:5]
	;; [unrolled: 1-line block ×8, first 2 shown]
	v_fma_f64 v[0:1], v[0:1], 2.0, -v[72:73]
	v_fma_f64 v[4:5], v[16:17], 2.0, -v[74:75]
	;; [unrolled: 1-line block ×8, first 2 shown]
	v_add_f64 v[82:83], v[14:15], -v[2:3]
	v_add_f64 v[84:85], v[8:9], -v[4:5]
	;; [unrolled: 1-line block ×4, first 2 shown]
	v_fma_f64 v[0:1], v[6:7], 2.0, -v[88:89]
	v_fma_f64 v[4:5], v[14:15], 2.0, -v[82:83]
	;; [unrolled: 1-line block ×4, first 2 shown]
	v_add_f64 v[2:3], v[4:5], -v[0:1]
	v_add_f64 v[0:1], v[10:11], -v[6:7]
	s_movk_i32 s6, 0xf0
	v_fma_f64 v[6:7], v[4:5], 2.0, -v[2:3]
	v_fma_f64 v[4:5], v[10:11], 2.0, -v[0:1]
	v_mad_u32_u24 v67, v66, s6, v70
	s_mov_b32 s6, 0x667f3bcd
	v_add_f64 v[16:17], v[48:49], -v[54:55]
	v_add_f64 v[18:19], v[40:41], -v[44:45]
	ds_write_b128 v67, v[4:7]
	s_mov_b32 s7, 0x3fe6a09e
	s_mov_b32 s9, 0xbfe6a09e
	;; [unrolled: 1-line block ×3, first 2 shown]
	v_add_f64 v[12:13], v[42:43], v[68:69]
	v_add_f64 v[14:15], v[50:51], v[52:53]
	v_fma_f64 v[6:7], v[48:49], 2.0, -v[16:17]
	v_fma_f64 v[10:11], v[40:41], 2.0, -v[18:19]
	v_fma_f64 v[4:5], v[50:51], 2.0, -v[14:15]
	v_fma_f64 v[8:9], v[42:43], 2.0, -v[12:13]
	v_fma_f64 v[48:49], s[8:9], v[6:7], v[10:11]
	v_add_f64 v[20:21], v[34:35], v[46:47]
	v_add_f64 v[22:23], v[58:59], v[60:61]
	v_fma_f64 v[44:45], s[8:9], v[4:5], v[8:9]
	v_fmac_f64_e32 v[48:49], s[8:9], v[4:5]
	v_add_f64 v[24:25], v[56:57], -v[62:63]
	v_add_f64 v[26:27], v[32:33], -v[36:37]
	v_fma_f64 v[4:5], v[58:59], 2.0, -v[22:23]
	v_fma_f64 v[34:35], v[34:35], 2.0, -v[20:21]
	v_fmac_f64_e32 v[44:45], s[6:7], v[6:7]
	v_fma_f64 v[6:7], v[56:57], 2.0, -v[24:25]
	v_fma_f64 v[46:47], s[8:9], v[4:5], v[34:35]
	v_fma_f64 v[32:33], v[32:33], 2.0, -v[26:27]
	v_fmac_f64_e32 v[46:47], s[6:7], v[6:7]
	v_fma_f64 v[50:51], s[8:9], v[6:7], v[32:33]
	s_mov_b32 s10, 0xcf328d46
	v_fmac_f64_e32 v[50:51], s[8:9], v[4:5]
	s_mov_b32 s11, 0x3fed906b
	s_mov_b32 s12, 0xa6aea964
	;; [unrolled: 1-line block ×4, first 2 shown]
	v_fma_f64 v[8:9], v[8:9], 2.0, -v[44:45]
	v_fma_f64 v[4:5], v[10:11], 2.0, -v[48:49]
	;; [unrolled: 1-line block ×3, first 2 shown]
	s_mov_b32 s13, 0x3fd87de2
	v_fma_f64 v[32:33], v[32:33], 2.0, -v[50:51]
	v_fma_f64 v[6:7], s[14:15], v[8:9], v[10:11]
	v_fmac_f64_e32 v[6:7], s[12:13], v[4:5]
	v_fma_f64 v[4:5], s[14:15], v[4:5], v[32:33]
	s_mov_b32 s17, 0xbfd87de2
	s_mov_b32 s16, s12
	v_fmac_f64_e32 v[4:5], s[16:17], v[8:9]
	v_fma_f64 v[8:9], v[32:33], 2.0, -v[4:5]
	v_fma_f64 v[32:33], s[6:7], v[24:25], v[26:27]
	v_fmac_f64_e32 v[32:33], s[8:9], v[22:23]
	v_fma_f64 v[22:23], s[6:7], v[22:23], v[20:21]
	v_fmac_f64_e32 v[22:23], s[6:7], v[24:25]
	;; [unrolled: 2-line block ×3, first 2 shown]
	v_fma_f64 v[14:15], s[6:7], v[14:15], v[12:13]
	v_fma_f64 v[10:11], v[10:11], 2.0, -v[6:7]
	v_fmac_f64_e32 v[14:15], s[6:7], v[16:17]
	ds_write_b128 v67, v[8:11] offset:16
	v_fma_f64 v[10:11], s[10:11], v[14:15], v[22:23]
	v_fma_f64 v[34:35], v[12:13], 2.0, -v[14:15]
	v_fma_f64 v[20:21], v[20:21], 2.0, -v[22:23]
	v_fma_f64 v[8:9], s[10:11], v[24:25], v[32:33]
	v_fmac_f64_e32 v[10:11], s[12:13], v[24:25]
	v_fma_f64 v[16:17], v[18:19], 2.0, -v[24:25]
	v_fma_f64 v[24:25], v[26:27], 2.0, -v[32:33]
	v_fma_f64 v[18:19], s[16:17], v[34:35], v[20:21]
	v_fmac_f64_e32 v[18:19], s[10:11], v[16:17]
	v_fma_f64 v[16:17], s[16:17], v[16:17], v[24:25]
	v_fmac_f64_e32 v[8:9], s[16:17], v[14:15]
	v_fmac_f64_e32 v[16:17], s[14:15], v[34:35]
	v_add_f64 v[36:37], v[28:29], -v[76:77]
	v_add_f64 v[40:41], v[78:79], -v[80:81]
	v_fma_f64 v[14:15], v[22:23], 2.0, -v[10:11]
	v_fma_f64 v[12:13], v[32:33], 2.0, -v[8:9]
	;; [unrolled: 1-line block ×4, first 2 shown]
	v_add_f64 v[32:33], v[38:39], v[72:73]
	v_add_f64 v[34:35], v[30:31], v[74:75]
	v_fma_f64 v[24:25], s[6:7], v[36:37], v[40:41]
	v_fma_f64 v[26:27], s[6:7], v[34:35], v[32:33]
	v_fmac_f64_e32 v[24:25], s[8:9], v[34:35]
	v_fmac_f64_e32 v[26:27], s[6:7], v[36:37]
	v_fma_f64 v[36:37], v[28:29], 2.0, -v[36:37]
	v_fma_f64 v[28:29], v[40:41], 2.0, -v[24:25]
	;; [unrolled: 1-line block ×6, first 2 shown]
	v_fma_f64 v[32:33], s[8:9], v[36:37], v[40:41]
	v_fma_f64 v[34:35], s[8:9], v[42:43], v[38:39]
	v_fmac_f64_e32 v[32:33], s[8:9], v[42:43]
	v_fmac_f64_e32 v[34:35], s[6:7], v[36:37]
	v_fma_f64 v[36:37], v[40:41], 2.0, -v[32:33]
	v_fma_f64 v[40:41], s[12:13], v[48:49], v[50:51]
	v_fma_f64 v[42:43], s[12:13], v[44:45], v[46:47]
	v_fmac_f64_e32 v[40:41], s[14:15], v[44:45]
	v_fma_f64 v[38:39], v[38:39], 2.0, -v[34:35]
	v_fmac_f64_e32 v[42:43], s[10:11], v[48:49]
	v_fma_f64 v[44:45], v[50:51], 2.0, -v[40:41]
	v_add_f64 v[48:49], v[86:87], -v[88:89]
	v_add_f64 v[50:51], v[82:83], v[84:85]
	v_fma_f64 v[46:47], v[46:47], 2.0, -v[42:43]
	v_fma_f64 v[54:55], v[82:83], 2.0, -v[50:51]
	;; [unrolled: 1-line block ×3, first 2 shown]
	ds_write_b128 v67, v[36:39] offset:32
	ds_write_b128 v67, v[20:23] offset:48
	ds_write_b128 v67, v[52:55] offset:64
	ds_write_b128 v67, v[44:47] offset:80
	ds_write_b128 v67, v[28:31] offset:96
	ds_write_b128 v67, v[12:15] offset:112
	ds_write_b128 v67, v[0:3] offset:128
	ds_write_b128 v67, v[4:7] offset:144
	ds_write_b128 v67, v[32:35] offset:160
	ds_write_b128 v67, v[16:19] offset:176
	ds_write_b128 v67, v[48:51] offset:192
	ds_write_b128 v67, v[40:43] offset:208
	ds_write_b128 v67, v[24:27] offset:224
	ds_write_b128 v67, v[8:11] offset:240
.LBB0_13:
	s_or_b64 exec, exec, s[2:3]
	v_and_b32_e32 v17, 15, v66
	v_lshlrev_b32_e32 v8, 5, v17
	s_waitcnt lgkmcnt(0)
	s_barrier
	global_load_dwordx4 v[4:7], v8, s[4:5]
	global_load_dwordx4 v[0:3], v8, s[4:5] offset:16
	v_add_u32_e32 v16, 0x144, v66
	v_and_b32_e32 v19, 15, v16
	v_lshlrev_b32_e32 v18, 5, v19
	global_load_dwordx4 v[12:15], v18, s[4:5]
	global_load_dwordx4 v[8:11], v18, s[4:5] offset:16
	v_add_u32_e32 v20, 0x288, v66
	v_and_b32_e32 v21, 15, v20
	ds_read_b128 v[22:25], v70 offset:20736
	ds_read_b128 v[26:29], v70 offset:25920
	;; [unrolled: 1-line block ×8, first 2 shown]
	v_lshlrev_b32_e32 v58, 5, v21
	v_add_u32_e32 v18, 0x3cc, v66
	v_and_b32_e32 v67, 15, v18
	v_lshlrev_b32_e32 v62, 5, v67
	s_mov_b32 s2, 0xe8584caa
	s_mov_b32 s3, 0x3febb67a
	;; [unrolled: 1-line block ×5, first 2 shown]
	s_movk_i32 s10, 0x1000
	s_movk_i32 s11, 0x6c
	s_waitcnt vmcnt(3) lgkmcnt(7)
	v_mul_f64 v[54:55], v[24:25], v[6:7]
	v_mul_f64 v[56:57], v[22:23], v[6:7]
	v_fma_f64 v[54:55], v[22:23], v[4:5], -v[54:55]
	v_fmac_f64_e32 v[56:57], v[24:25], v[4:5]
	global_load_dwordx4 v[4:7], v58, s[4:5]
	global_load_dwordx4 v[22:25], v58, s[4:5] offset:16
	s_waitcnt vmcnt(4) lgkmcnt(4)
	v_mul_f64 v[60:61], v[34:35], v[2:3]
	v_mul_f64 v[58:59], v[36:37], v[2:3]
	v_fmac_f64_e32 v[60:61], v[36:37], v[0:1]
	s_waitcnt vmcnt(3)
	v_mul_f64 v[36:37], v[26:27], v[14:15]
	v_fma_f64 v[34:35], v[34:35], v[0:1], -v[58:59]
	v_mul_f64 v[0:1], v[28:29], v[14:15]
	s_waitcnt vmcnt(2) lgkmcnt(2)
	v_mul_f64 v[2:3], v[44:45], v[10:11]
	v_fmac_f64_e32 v[36:37], v[28:29], v[12:13]
	v_mul_f64 v[28:29], v[42:43], v[10:11]
	v_fma_f64 v[58:59], v[26:27], v[12:13], -v[0:1]
	v_fma_f64 v[42:43], v[42:43], v[8:9], -v[2:3]
	global_load_dwordx4 v[0:3], v62, s[4:5]
	v_fmac_f64_e32 v[28:29], v[44:45], v[8:9]
	global_load_dwordx4 v[8:11], v62, s[4:5] offset:16
	v_add_f64 v[26:27], v[54:55], -v[34:35]
	s_waitcnt vmcnt(3)
	v_mul_f64 v[12:13], v[32:33], v[6:7]
	v_mul_f64 v[44:45], v[30:31], v[6:7]
	s_waitcnt vmcnt(2) lgkmcnt(1)
	v_mul_f64 v[6:7], v[48:49], v[24:25]
	v_fma_f64 v[62:63], v[30:31], v[4:5], -v[12:13]
	v_fmac_f64_e32 v[44:45], v[32:33], v[4:5]
	v_mul_f64 v[68:69], v[46:47], v[24:25]
	v_fma_f64 v[46:47], v[46:47], v[22:23], -v[6:7]
	ds_read_b128 v[4:7], v70
	ds_read_b128 v[12:15], v70 offset:57024
	v_fmac_f64_e32 v[68:69], v[48:49], v[22:23]
	v_add_f64 v[32:33], v[58:59], v[42:43]
	v_add_f64 v[24:25], v[56:57], -v[60:61]
	s_waitcnt vmcnt(1)
	v_mul_f64 v[22:23], v[40:41], v[2:3]
	v_mul_f64 v[72:73], v[38:39], v[2:3]
	s_waitcnt vmcnt(0) lgkmcnt(0)
	v_mul_f64 v[2:3], v[14:15], v[10:11]
	v_mul_f64 v[76:77], v[12:13], v[10:11]
	v_fma_f64 v[74:75], v[38:39], v[0:1], -v[22:23]
	v_fmac_f64_e32 v[72:73], v[40:41], v[0:1]
	v_fma_f64 v[78:79], v[12:13], v[8:9], -v[2:3]
	v_fmac_f64_e32 v[76:77], v[14:15], v[8:9]
	ds_read_b128 v[0:3], v70 offset:5184
	ds_read_b128 v[8:11], v70 offset:10368
	v_add_f64 v[12:13], v[4:5], v[54:55]
	v_add_f64 v[14:15], v[54:55], v[34:35]
	;; [unrolled: 1-line block ×3, first 2 shown]
	s_waitcnt lgkmcnt(1)
	v_add_f64 v[30:31], v[0:1], v[58:59]
	v_fmac_f64_e32 v[0:1], -0.5, v[32:33]
	v_add_f64 v[32:33], v[2:3], v[36:37]
	v_fmac_f64_e32 v[4:5], -0.5, v[14:15]
	v_add_f64 v[14:15], v[6:7], v[56:57]
	v_add_f64 v[12:13], v[12:13], v[34:35]
	v_fmac_f64_e32 v[6:7], -0.5, v[22:23]
	v_add_f64 v[34:35], v[36:37], -v[28:29]
	v_add_f64 v[32:33], v[32:33], v[28:29]
	v_add_f64 v[28:29], v[36:37], v[28:29]
	v_fma_f64 v[22:23], s[2:3], v[24:25], v[4:5]
	v_fmac_f64_e32 v[4:5], s[6:7], v[24:25]
	v_fma_f64 v[24:25], s[6:7], v[26:27], v[6:7]
	v_fmac_f64_e32 v[6:7], s[2:3], v[26:27]
	;; [unrolled: 2-line block ×3, first 2 shown]
	v_fmac_f64_e32 v[2:3], -0.5, v[28:29]
	v_add_f64 v[34:35], v[58:59], -v[42:43]
	v_fma_f64 v[28:29], s[6:7], v[34:35], v[2:3]
	v_fmac_f64_e32 v[2:3], s[2:3], v[34:35]
	v_add_f64 v[34:35], v[62:63], v[46:47]
	s_waitcnt lgkmcnt(0)
	v_add_f64 v[36:37], v[8:9], v[62:63]
	v_fmac_f64_e32 v[8:9], -0.5, v[34:35]
	v_add_f64 v[38:39], v[44:45], -v[68:69]
	v_fma_f64 v[34:35], s[2:3], v[38:39], v[8:9]
	v_fmac_f64_e32 v[8:9], s[6:7], v[38:39]
	v_add_f64 v[38:39], v[36:37], v[46:47]
	v_add_f64 v[36:37], v[10:11], v[44:45]
	;; [unrolled: 1-line block ×5, first 2 shown]
	v_fmac_f64_e32 v[10:11], -0.5, v[36:37]
	v_add_f64 v[42:43], v[62:63], -v[46:47]
	v_fma_f64 v[36:37], s[6:7], v[42:43], v[10:11]
	v_fmac_f64_e32 v[10:11], s[2:3], v[42:43]
	v_add_f64 v[42:43], v[74:75], v[78:79]
	v_add_f64 v[44:45], v[50:51], v[74:75]
	v_fmac_f64_e32 v[50:51], -0.5, v[42:43]
	v_add_f64 v[46:47], v[72:73], -v[76:77]
	v_fma_f64 v[42:43], s[2:3], v[46:47], v[50:51]
	v_fmac_f64_e32 v[50:51], s[6:7], v[46:47]
	v_add_f64 v[46:47], v[44:45], v[78:79]
	v_add_f64 v[44:45], v[52:53], v[72:73]
	;; [unrolled: 1-line block ×4, first 2 shown]
	v_fmac_f64_e32 v[52:53], -0.5, v[44:45]
	v_add_f64 v[54:55], v[74:75], -v[78:79]
	v_fma_f64 v[44:45], s[6:7], v[54:55], v[52:53]
	v_fmac_f64_e32 v[52:53], s[2:3], v[54:55]
	v_lshrrev_b32_e32 v54, 4, v66
	v_mul_u32_u24_e32 v54, 48, v54
	v_or_b32_e32 v17, v54, v17
	v_add_f64 v[14:15], v[14:15], v[60:61]
	v_lshl_add_u32 v17, v17, 4, 0
	s_barrier
	ds_write_b128 v17, v[12:15]
	ds_write_b128 v17, v[22:25] offset:256
	ds_write_b128 v17, v[4:7] offset:512
	v_lshrrev_b32_e32 v4, 4, v16
	v_mul_u32_u24_e32 v4, 48, v4
	v_or_b32_e32 v4, v4, v19
	v_lshl_add_u32 v4, v4, 4, 0
	ds_write_b128 v4, v[30:33]
	ds_write_b128 v4, v[26:29] offset:256
	ds_write_b128 v4, v[0:3] offset:512
	v_lshrrev_b32_e32 v0, 4, v20
	v_mul_u32_u24_e32 v0, 48, v0
	v_or_b32_e32 v0, v0, v21
	v_lshl_add_u32 v0, v0, 4, 0
	;; [unrolled: 7-line block ×3, first 2 shown]
	ds_write_b128 v0, v[46:49]
	ds_write_b128 v0, v[42:45] offset:256
	ds_write_b128 v0, v[50:53] offset:512
	v_mul_u32_u24_sdwa v0, v66, s8 dst_sel:DWORD dst_unused:UNUSED_PAD src0_sel:WORD_0 src1_sel:DWORD
	v_lshrrev_b32_e32 v17, 21, v0
	v_mul_lo_u16_e32 v0, 48, v17
	v_sub_u16_e32 v19, v66, v0
	v_lshlrev_b32_e32 v0, 5, v19
	s_waitcnt lgkmcnt(0)
	s_barrier
	global_load_dwordx4 v[4:7], v0, s[4:5] offset:512
	global_load_dwordx4 v[8:11], v0, s[4:5] offset:528
	v_mul_u32_u24_sdwa v0, v16, s8 dst_sel:DWORD dst_unused:UNUSED_PAD src0_sel:WORD_0 src1_sel:DWORD
	v_lshrrev_b32_e32 v21, 21, v0
	v_mul_lo_u16_e32 v0, 48, v21
	v_sub_u16_e32 v67, v16, v0
	v_lshlrev_b32_e32 v0, 5, v67
	global_load_dwordx4 v[12:15], v0, s[4:5] offset:512
	global_load_dwordx4 v[22:25], v0, s[4:5] offset:528
	v_mul_u32_u24_sdwa v0, v20, s8 dst_sel:DWORD dst_unused:UNUSED_PAD src0_sel:WORD_0 src1_sel:DWORD
	v_lshrrev_b32_e32 v71, 21, v0
	v_mul_lo_u16_e32 v0, 48, v71
	v_sub_u16_e32 v74, v20, v0
	v_lshlrev_b32_e32 v0, 5, v74
	global_load_dwordx4 v[26:29], v0, s[4:5] offset:512
	global_load_dwordx4 v[30:33], v0, s[4:5] offset:528
	ds_read_b128 v[34:37], v70 offset:20736
	v_mul_u32_u24_sdwa v0, v18, s8 dst_sel:DWORD dst_unused:UNUSED_PAD src0_sel:WORD_0 src1_sel:DWORD
	ds_read_b128 v[38:41], v70 offset:41472
	v_lshrrev_b32_e32 v75, 21, v0
	v_mul_lo_u16_e32 v0, 48, v75
	v_sub_u16_e32 v76, v18, v0
	ds_read_b128 v[0:3], v70 offset:15552
	v_lshlrev_b32_e32 v56, 5, v76
	s_mov_b32 s8, 0xe38f
	s_waitcnt vmcnt(5) lgkmcnt(2)
	v_mul_f64 v[42:43], v[36:37], v[6:7]
	v_mul_f64 v[44:45], v[34:35], v[6:7]
	v_fma_f64 v[42:43], v[34:35], v[4:5], -v[42:43]
	v_fmac_f64_e32 v[44:45], v[36:37], v[4:5]
	ds_read_b128 v[4:7], v70 offset:36288
	ds_read_b128 v[34:37], v70 offset:25920
	s_waitcnt vmcnt(4) lgkmcnt(3)
	v_mul_f64 v[46:47], v[40:41], v[10:11]
	v_mul_f64 v[48:49], v[38:39], v[10:11]
	v_fma_f64 v[46:47], v[38:39], v[8:9], -v[46:47]
	v_fmac_f64_e32 v[48:49], v[40:41], v[8:9]
	ds_read_b128 v[8:11], v70 offset:31104
	ds_read_b128 v[38:41], v70 offset:46656
	s_waitcnt vmcnt(3) lgkmcnt(2)
	v_mul_f64 v[50:51], v[36:37], v[14:15]
	v_fma_f64 v[50:51], v[34:35], v[12:13], -v[50:51]
	v_mul_f64 v[34:35], v[34:35], v[14:15]
	v_fmac_f64_e32 v[34:35], v[36:37], v[12:13]
	ds_read_b128 v[12:15], v70 offset:51840
	s_waitcnt vmcnt(2) lgkmcnt(1)
	v_mul_f64 v[36:37], v[40:41], v[24:25]
	v_fma_f64 v[36:37], v[38:39], v[22:23], -v[36:37]
	v_mul_f64 v[38:39], v[38:39], v[24:25]
	v_fmac_f64_e32 v[38:39], v[40:41], v[22:23]
	global_load_dwordx4 v[22:25], v56, s[4:5] offset:512
	s_waitcnt vmcnt(2)
	v_mul_f64 v[40:41], v[10:11], v[28:29]
	v_mul_f64 v[54:55], v[8:9], v[28:29]
	v_fma_f64 v[52:53], v[8:9], v[26:27], -v[40:41]
	v_fmac_f64_e32 v[54:55], v[10:11], v[26:27]
	global_load_dwordx4 v[8:11], v56, s[4:5] offset:528
	s_waitcnt vmcnt(2) lgkmcnt(0)
	v_mul_f64 v[26:27], v[14:15], v[32:33]
	v_mul_f64 v[58:59], v[12:13], v[32:33]
	v_fma_f64 v[56:57], v[12:13], v[30:31], -v[26:27]
	v_fmac_f64_e32 v[58:59], v[14:15], v[30:31]
	ds_read_b128 v[12:15], v70 offset:57024
	v_add_f64 v[30:31], v[34:35], -v[38:39]
	s_waitcnt vmcnt(1)
	v_mul_f64 v[26:27], v[6:7], v[24:25]
	v_mul_f64 v[62:63], v[4:5], v[24:25]
	v_fma_f64 v[60:61], v[4:5], v[22:23], -v[26:27]
	v_fmac_f64_e32 v[62:63], v[6:7], v[22:23]
	ds_read_b128 v[4:7], v70
	s_waitcnt vmcnt(0) lgkmcnt(1)
	v_mul_f64 v[22:23], v[14:15], v[10:11]
	v_mul_f64 v[72:73], v[12:13], v[10:11]
	v_fma_f64 v[68:69], v[12:13], v[8:9], -v[22:23]
	v_fmac_f64_e32 v[72:73], v[14:15], v[8:9]
	s_waitcnt lgkmcnt(0)
	v_add_f64 v[8:9], v[4:5], v[42:43]
	v_add_f64 v[10:11], v[6:7], v[44:45]
	v_mul_u32_u24_e32 v12, 0x900, v17
	v_lshlrev_b32_e32 v13, 4, v19
	v_add_f64 v[8:9], v[8:9], v[46:47]
	v_add_f64 v[10:11], v[10:11], v[48:49]
	v_add3_u32 v17, 0, v12, v13
	ds_read_b128 v[12:15], v70 offset:5184
	ds_read_b128 v[22:25], v70 offset:10368
	s_waitcnt lgkmcnt(0)
	s_barrier
	ds_write_b128 v17, v[8:11]
	v_add_f64 v[8:9], v[42:43], v[46:47]
	v_fmac_f64_e32 v[4:5], -0.5, v[8:9]
	v_add_f64 v[10:11], v[44:45], -v[48:49]
	v_fma_f64 v[8:9], s[2:3], v[10:11], v[4:5]
	v_fmac_f64_e32 v[4:5], s[6:7], v[10:11]
	v_add_f64 v[10:11], v[44:45], v[48:49]
	v_fmac_f64_e32 v[6:7], -0.5, v[10:11]
	v_add_f64 v[26:27], v[42:43], -v[46:47]
	v_fma_f64 v[10:11], s[6:7], v[26:27], v[6:7]
	v_fmac_f64_e32 v[6:7], s[2:3], v[26:27]
	v_add_f64 v[26:27], v[50:51], v[36:37]
	v_add_f64 v[28:29], v[12:13], v[50:51]
	v_fmac_f64_e32 v[12:13], -0.5, v[26:27]
	v_fma_f64 v[26:27], s[2:3], v[30:31], v[12:13]
	v_fmac_f64_e32 v[12:13], s[6:7], v[30:31]
	v_add_f64 v[30:31], v[28:29], v[36:37]
	v_add_f64 v[28:29], v[14:15], v[34:35]
	;; [unrolled: 1-line block ×4, first 2 shown]
	v_fmac_f64_e32 v[14:15], -0.5, v[28:29]
	v_add_f64 v[34:35], v[50:51], -v[36:37]
	v_fma_f64 v[28:29], s[6:7], v[34:35], v[14:15]
	v_fmac_f64_e32 v[14:15], s[2:3], v[34:35]
	v_add_f64 v[34:35], v[52:53], v[56:57]
	v_add_f64 v[36:37], v[22:23], v[52:53]
	v_fmac_f64_e32 v[22:23], -0.5, v[34:35]
	v_add_f64 v[38:39], v[54:55], -v[58:59]
	v_fma_f64 v[34:35], s[2:3], v[38:39], v[22:23]
	v_fmac_f64_e32 v[22:23], s[6:7], v[38:39]
	v_add_f64 v[38:39], v[36:37], v[56:57]
	v_add_f64 v[36:37], v[24:25], v[54:55]
	;; [unrolled: 1-line block ×4, first 2 shown]
	v_fmac_f64_e32 v[24:25], -0.5, v[36:37]
	v_add_f64 v[42:43], v[52:53], -v[56:57]
	ds_write_b128 v17, v[8:11] offset:768
	ds_write_b128 v17, v[4:7] offset:1536
	v_mul_u32_u24_e32 v4, 0x900, v21
	v_lshlrev_b32_e32 v5, 4, v67
	v_fma_f64 v[36:37], s[6:7], v[42:43], v[24:25]
	v_fmac_f64_e32 v[24:25], s[2:3], v[42:43]
	v_add_f64 v[42:43], v[60:61], v[68:69]
	v_add3_u32 v4, 0, v4, v5
	v_add_f64 v[44:45], v[0:1], v[60:61]
	v_fmac_f64_e32 v[0:1], -0.5, v[42:43]
	v_add_f64 v[46:47], v[62:63], -v[72:73]
	ds_write_b128 v4, v[30:33]
	ds_write_b128 v4, v[26:29] offset:768
	ds_write_b128 v4, v[12:15] offset:1536
	v_mul_u32_u24_e32 v4, 0x900, v71
	v_lshlrev_b32_e32 v5, 4, v74
	v_fma_f64 v[42:43], s[2:3], v[46:47], v[0:1]
	v_fmac_f64_e32 v[0:1], s[6:7], v[46:47]
	v_add_f64 v[46:47], v[44:45], v[68:69]
	v_add_f64 v[44:45], v[2:3], v[62:63]
	v_add3_u32 v4, 0, v4, v5
	v_add_f64 v[48:49], v[44:45], v[72:73]
	v_add_f64 v[44:45], v[62:63], v[72:73]
	ds_write_b128 v4, v[38:41]
	ds_write_b128 v4, v[34:37] offset:768
	ds_write_b128 v4, v[22:25] offset:1536
	v_mul_u32_u24_e32 v4, 0x900, v75
	v_lshlrev_b32_e32 v5, 4, v76
	v_fmac_f64_e32 v[2:3], -0.5, v[44:45]
	v_add_f64 v[50:51], v[60:61], -v[68:69]
	v_add3_u32 v4, 0, v4, v5
	v_fma_f64 v[44:45], s[6:7], v[50:51], v[2:3]
	v_fmac_f64_e32 v[2:3], s[2:3], v[50:51]
	ds_write_b128 v4, v[46:49]
	ds_write_b128 v4, v[42:45] offset:768
	ds_write_b128 v4, v[0:3] offset:1536
	v_mul_u32_u24_sdwa v0, v66, s8 dst_sel:DWORD dst_unused:UNUSED_PAD src0_sel:WORD_0 src1_sel:DWORD
	v_lshrrev_b32_e32 v17, 23, v0
	v_mul_lo_u16_e32 v0, 0x90, v17
	v_sub_u16_e32 v19, v66, v0
	v_lshlrev_b32_e32 v0, 5, v19
	s_waitcnt lgkmcnt(0)
	s_barrier
	global_load_dwordx4 v[4:7], v0, s[4:5] offset:2048
	global_load_dwordx4 v[8:11], v0, s[4:5] offset:2064
	v_mul_u32_u24_sdwa v0, v16, s8 dst_sel:DWORD dst_unused:UNUSED_PAD src0_sel:WORD_0 src1_sel:DWORD
	v_lshrrev_b32_e32 v21, 23, v0
	v_mul_lo_u16_e32 v0, 0x90, v21
	v_sub_u16_e32 v67, v16, v0
	v_lshlrev_b32_e32 v0, 5, v67
	global_load_dwordx4 v[12:15], v0, s[4:5] offset:2048
	global_load_dwordx4 v[22:25], v0, s[4:5] offset:2064
	v_mul_u32_u24_sdwa v0, v20, s8 dst_sel:DWORD dst_unused:UNUSED_PAD src0_sel:WORD_0 src1_sel:DWORD
	v_lshrrev_b32_e32 v71, 23, v0
	v_mul_lo_u16_e32 v0, 0x90, v71
	v_sub_u16_e32 v74, v20, v0
	v_lshlrev_b32_e32 v0, 5, v74
	global_load_dwordx4 v[26:29], v0, s[4:5] offset:2048
	global_load_dwordx4 v[30:33], v0, s[4:5] offset:2064
	ds_read_b128 v[34:37], v70 offset:20736
	v_mul_u32_u24_sdwa v0, v18, s8 dst_sel:DWORD dst_unused:UNUSED_PAD src0_sel:WORD_0 src1_sel:DWORD
	ds_read_b128 v[38:41], v70 offset:41472
	v_lshrrev_b32_e32 v75, 23, v0
	v_mul_lo_u16_e32 v0, 0x90, v75
	v_sub_u16_e32 v76, v18, v0
	ds_read_b128 v[0:3], v70 offset:15552
	v_lshlrev_b32_e32 v56, 5, v76
	s_mov_b64 s[8:9], 0x1a00
	s_waitcnt vmcnt(5) lgkmcnt(2)
	v_mul_f64 v[42:43], v[36:37], v[6:7]
	v_mul_f64 v[44:45], v[34:35], v[6:7]
	v_fma_f64 v[42:43], v[34:35], v[4:5], -v[42:43]
	v_fmac_f64_e32 v[44:45], v[36:37], v[4:5]
	ds_read_b128 v[4:7], v70 offset:36288
	ds_read_b128 v[34:37], v70 offset:25920
	s_waitcnt vmcnt(4) lgkmcnt(3)
	v_mul_f64 v[46:47], v[40:41], v[10:11]
	v_mul_f64 v[48:49], v[38:39], v[10:11]
	v_fma_f64 v[46:47], v[38:39], v[8:9], -v[46:47]
	v_fmac_f64_e32 v[48:49], v[40:41], v[8:9]
	ds_read_b128 v[8:11], v70 offset:31104
	ds_read_b128 v[38:41], v70 offset:46656
	s_waitcnt vmcnt(3) lgkmcnt(2)
	v_mul_f64 v[50:51], v[36:37], v[14:15]
	v_fma_f64 v[50:51], v[34:35], v[12:13], -v[50:51]
	v_mul_f64 v[34:35], v[34:35], v[14:15]
	v_fmac_f64_e32 v[34:35], v[36:37], v[12:13]
	ds_read_b128 v[12:15], v70 offset:51840
	s_waitcnt vmcnt(2) lgkmcnt(1)
	v_mul_f64 v[36:37], v[40:41], v[24:25]
	v_fma_f64 v[36:37], v[38:39], v[22:23], -v[36:37]
	v_mul_f64 v[38:39], v[38:39], v[24:25]
	v_fmac_f64_e32 v[38:39], v[40:41], v[22:23]
	global_load_dwordx4 v[22:25], v56, s[4:5] offset:2048
	s_waitcnt vmcnt(2)
	v_mul_f64 v[40:41], v[10:11], v[28:29]
	v_mul_f64 v[54:55], v[8:9], v[28:29]
	v_fma_f64 v[52:53], v[8:9], v[26:27], -v[40:41]
	v_fmac_f64_e32 v[54:55], v[10:11], v[26:27]
	global_load_dwordx4 v[8:11], v56, s[4:5] offset:2064
	s_waitcnt vmcnt(2) lgkmcnt(0)
	v_mul_f64 v[26:27], v[14:15], v[32:33]
	v_mul_f64 v[58:59], v[12:13], v[32:33]
	v_fma_f64 v[56:57], v[12:13], v[30:31], -v[26:27]
	v_fmac_f64_e32 v[58:59], v[14:15], v[30:31]
	ds_read_b128 v[12:15], v70 offset:57024
	v_add_f64 v[30:31], v[34:35], -v[38:39]
	s_waitcnt vmcnt(1)
	v_mul_f64 v[26:27], v[6:7], v[24:25]
	v_mul_f64 v[62:63], v[4:5], v[24:25]
	v_fma_f64 v[60:61], v[4:5], v[22:23], -v[26:27]
	v_fmac_f64_e32 v[62:63], v[6:7], v[22:23]
	ds_read_b128 v[4:7], v70
	s_waitcnt vmcnt(0) lgkmcnt(1)
	v_mul_f64 v[22:23], v[14:15], v[10:11]
	v_mul_f64 v[72:73], v[12:13], v[10:11]
	v_fma_f64 v[68:69], v[12:13], v[8:9], -v[22:23]
	v_fmac_f64_e32 v[72:73], v[14:15], v[8:9]
	s_waitcnt lgkmcnt(0)
	v_add_f64 v[8:9], v[4:5], v[42:43]
	v_add_f64 v[10:11], v[6:7], v[44:45]
	v_mul_u32_u24_e32 v12, 0x1b00, v17
	v_lshlrev_b32_e32 v13, 4, v19
	v_add_f64 v[8:9], v[8:9], v[46:47]
	v_add_f64 v[10:11], v[10:11], v[48:49]
	v_add3_u32 v17, 0, v12, v13
	ds_read_b128 v[12:15], v70 offset:5184
	ds_read_b128 v[22:25], v70 offset:10368
	s_waitcnt lgkmcnt(0)
	s_barrier
	ds_write_b128 v17, v[8:11]
	v_add_f64 v[8:9], v[42:43], v[46:47]
	v_fmac_f64_e32 v[4:5], -0.5, v[8:9]
	v_add_f64 v[10:11], v[44:45], -v[48:49]
	v_fma_f64 v[8:9], s[2:3], v[10:11], v[4:5]
	v_fmac_f64_e32 v[4:5], s[6:7], v[10:11]
	v_add_f64 v[10:11], v[44:45], v[48:49]
	v_fmac_f64_e32 v[6:7], -0.5, v[10:11]
	v_add_f64 v[26:27], v[42:43], -v[46:47]
	v_fma_f64 v[10:11], s[6:7], v[26:27], v[6:7]
	v_fmac_f64_e32 v[6:7], s[2:3], v[26:27]
	v_add_f64 v[26:27], v[50:51], v[36:37]
	v_add_f64 v[28:29], v[12:13], v[50:51]
	v_fmac_f64_e32 v[12:13], -0.5, v[26:27]
	v_fma_f64 v[26:27], s[2:3], v[30:31], v[12:13]
	v_fmac_f64_e32 v[12:13], s[6:7], v[30:31]
	v_add_f64 v[30:31], v[28:29], v[36:37]
	v_add_f64 v[28:29], v[14:15], v[34:35]
	;; [unrolled: 1-line block ×4, first 2 shown]
	v_fmac_f64_e32 v[14:15], -0.5, v[28:29]
	v_add_f64 v[34:35], v[50:51], -v[36:37]
	v_fma_f64 v[28:29], s[6:7], v[34:35], v[14:15]
	v_fmac_f64_e32 v[14:15], s[2:3], v[34:35]
	v_add_f64 v[34:35], v[52:53], v[56:57]
	v_add_f64 v[36:37], v[22:23], v[52:53]
	v_fmac_f64_e32 v[22:23], -0.5, v[34:35]
	v_add_f64 v[38:39], v[54:55], -v[58:59]
	v_fma_f64 v[34:35], s[2:3], v[38:39], v[22:23]
	v_fmac_f64_e32 v[22:23], s[6:7], v[38:39]
	v_add_f64 v[38:39], v[36:37], v[56:57]
	v_add_f64 v[36:37], v[24:25], v[54:55]
	;; [unrolled: 1-line block ×4, first 2 shown]
	v_fmac_f64_e32 v[24:25], -0.5, v[36:37]
	v_add_f64 v[42:43], v[52:53], -v[56:57]
	ds_write_b128 v17, v[8:11] offset:2304
	ds_write_b128 v17, v[4:7] offset:4608
	v_mul_u32_u24_e32 v4, 0x1b00, v21
	v_lshlrev_b32_e32 v5, 4, v67
	v_fma_f64 v[36:37], s[6:7], v[42:43], v[24:25]
	v_fmac_f64_e32 v[24:25], s[2:3], v[42:43]
	v_add_f64 v[42:43], v[60:61], v[68:69]
	v_add3_u32 v4, 0, v4, v5
	v_add_f64 v[44:45], v[0:1], v[60:61]
	v_fmac_f64_e32 v[0:1], -0.5, v[42:43]
	v_add_f64 v[46:47], v[62:63], -v[72:73]
	ds_write_b128 v4, v[30:33]
	ds_write_b128 v4, v[26:29] offset:2304
	ds_write_b128 v4, v[12:15] offset:4608
	v_mul_u32_u24_e32 v4, 0x1b00, v71
	v_lshlrev_b32_e32 v5, 4, v74
	v_fma_f64 v[42:43], s[2:3], v[46:47], v[0:1]
	v_fmac_f64_e32 v[0:1], s[6:7], v[46:47]
	v_add_f64 v[46:47], v[44:45], v[68:69]
	v_add_f64 v[44:45], v[2:3], v[62:63]
	v_add3_u32 v4, 0, v4, v5
	v_add_f64 v[48:49], v[44:45], v[72:73]
	v_add_f64 v[44:45], v[62:63], v[72:73]
	ds_write_b128 v4, v[38:41]
	ds_write_b128 v4, v[34:37] offset:2304
	ds_write_b128 v4, v[22:25] offset:4608
	v_mul_u32_u24_e32 v4, 0x1b00, v75
	v_lshlrev_b32_e32 v5, 4, v76
	v_fmac_f64_e32 v[2:3], -0.5, v[44:45]
	v_add_f64 v[50:51], v[60:61], -v[68:69]
	v_add3_u32 v4, 0, v4, v5
	v_lshlrev_b32_e32 v8, 1, v66
	v_mov_b32_e32 v9, 0
	v_fma_f64 v[44:45], s[6:7], v[50:51], v[2:3]
	v_fmac_f64_e32 v[2:3], s[2:3], v[50:51]
	ds_write_b128 v4, v[46:49]
	ds_write_b128 v4, v[42:45] offset:2304
	ds_write_b128 v4, v[0:3] offset:4608
	v_lshl_add_u64 v[4:5], v[8:9], 4, s[4:5]
	v_add_co_u32_e32 v2, vcc, s10, v4
	v_lshl_add_u64 v[0:1], v[4:5], 0, s[8:9]
	s_nop 0
	v_addc_co_u32_e32 v3, vcc, 0, v5, vcc
	s_waitcnt lgkmcnt(0)
	s_barrier
	global_load_dwordx4 v[10:13], v[2:3], off offset:2560
	global_load_dwordx4 v[22:25], v[0:1], off offset:16
	v_add_u32_e32 v0, 0xffffff94, v66
	v_cmp_gt_u32_e32 vcc, s11, v66
	ds_read_b128 v[42:45], v70 offset:20736
	ds_read_b128 v[46:49], v70 offset:41472
	v_cndmask_b32_e32 v17, v0, v16, vcc
	v_lshlrev_b32_e32 v8, 1, v17
	v_lshl_add_u64 v[0:1], v[8:9], 4, s[4:5]
	v_add_co_u32_e32 v2, vcc, s10, v0
	s_nop 1
	v_addc_co_u32_e32 v3, vcc, 0, v1, vcc
	global_load_dwordx4 v[26:29], v[2:3], off offset:2560
	v_lshl_add_u64 v[0:1], v[0:1], 0, s[8:9]
	global_load_dwordx4 v[30:33], v[0:1], off offset:16
	v_lshrrev_b16_e32 v0, 4, v20
	v_mul_u32_u24_e32 v0, 0x12f7, v0
	v_lshrrev_b32_e32 v19, 17, v0
	v_mul_lo_u16_e32 v0, 0x1b0, v19
	v_sub_u16_e32 v21, v20, v0
	v_lshlrev_b32_e32 v8, 5, v21
	v_lshl_add_u64 v[0:1], s[4:5], 0, v[8:9]
	v_add_co_u32_e32 v2, vcc, s10, v0
	s_nop 1
	v_addc_co_u32_e32 v3, vcc, 0, v1, vcc
	global_load_dwordx4 v[34:37], v[2:3], off offset:2560
	v_lshl_add_u64 v[0:1], v[0:1], 0, s[8:9]
	global_load_dwordx4 v[38:41], v[0:1], off offset:16
	v_lshrrev_b16_e32 v0, 4, v18
	v_mul_u32_u24_e32 v0, 0x12f7, v0
	v_lshrrev_b32_e32 v0, 17, v0
	v_mul_lo_u16_e32 v0, 0x1b0, v0
	v_sub_u16_e32 v67, v18, v0
	ds_read_b128 v[0:3], v70 offset:15552
	v_lshlrev_b32_e32 v8, 5, v67
	v_lshl_add_u64 v[6:7], s[4:5], 0, v[8:9]
	v_lshlrev_b32_e32 v8, 1, v16
	s_waitcnt vmcnt(5) lgkmcnt(2)
	v_mul_f64 v[14:15], v[44:45], v[12:13]
	v_mul_f64 v[50:51], v[42:43], v[12:13]
	v_fma_f64 v[14:15], v[42:43], v[10:11], -v[14:15]
	v_fmac_f64_e32 v[50:51], v[44:45], v[10:11]
	ds_read_b128 v[42:45], v70 offset:25920
	ds_read_b128 v[10:13], v70 offset:36288
	s_waitcnt vmcnt(4) lgkmcnt(3)
	v_mul_f64 v[52:53], v[48:49], v[24:25]
	v_mul_f64 v[54:55], v[46:47], v[24:25]
	v_fma_f64 v[52:53], v[46:47], v[22:23], -v[52:53]
	v_fmac_f64_e32 v[54:55], v[48:49], v[22:23]
	ds_read_b128 v[22:25], v70 offset:31104
	ds_read_b128 v[46:49], v70 offset:46656
	s_waitcnt vmcnt(3) lgkmcnt(3)
	v_mul_f64 v[56:57], v[44:45], v[28:29]
	v_fma_f64 v[56:57], v[42:43], v[26:27], -v[56:57]
	v_mul_f64 v[42:43], v[42:43], v[28:29]
	v_fmac_f64_e32 v[42:43], v[44:45], v[26:27]
	ds_read_b128 v[26:29], v70 offset:51840
	s_waitcnt vmcnt(2) lgkmcnt(1)
	v_mul_f64 v[44:45], v[48:49], v[32:33]
	v_fma_f64 v[44:45], v[46:47], v[30:31], -v[44:45]
	v_mul_f64 v[46:47], v[46:47], v[32:33]
	v_fmac_f64_e32 v[46:47], v[48:49], v[30:31]
	v_add_co_u32_e32 v30, vcc, s10, v6
	s_movk_i32 s10, 0x5000
	s_nop 0
	v_addc_co_u32_e32 v31, vcc, 0, v7, vcc
	global_load_dwordx4 v[30:33], v[30:31], off offset:2560
	v_lshl_add_u64 v[6:7], v[6:7], 0, s[8:9]
	s_waitcnt vmcnt(2)
	v_mul_f64 v[48:49], v[24:25], v[36:37]
	v_mul_f64 v[60:61], v[22:23], v[36:37]
	v_fma_f64 v[58:59], v[22:23], v[34:35], -v[48:49]
	v_fmac_f64_e32 v[60:61], v[24:25], v[34:35]
	global_load_dwordx4 v[22:25], v[6:7], off offset:16
	s_waitcnt vmcnt(2) lgkmcnt(0)
	v_mul_f64 v[6:7], v[28:29], v[40:41]
	v_mul_f64 v[62:63], v[26:27], v[40:41]
	v_fma_f64 v[6:7], v[26:27], v[38:39], -v[6:7]
	v_fmac_f64_e32 v[62:63], v[28:29], v[38:39]
	ds_read_b128 v[26:29], v70 offset:57024
	v_add_f64 v[36:37], v[42:43], -v[46:47]
	s_movk_i32 s8, 0x6b
	v_cmp_lt_u32_e32 vcc, s8, v66
	s_mov_b64 s[8:9], 0x5000
	s_waitcnt vmcnt(1)
	v_mul_f64 v[34:35], v[12:13], v[32:33]
	v_mul_f64 v[72:73], v[10:11], v[32:33]
	v_fma_f64 v[68:69], v[10:11], v[30:31], -v[34:35]
	v_fmac_f64_e32 v[72:73], v[12:13], v[30:31]
	ds_read_b128 v[10:13], v70
	v_add_f64 v[34:35], v[56:57], v[44:45]
	s_waitcnt vmcnt(0) lgkmcnt(1)
	v_mul_f64 v[30:31], v[28:29], v[24:25]
	v_mul_f64 v[76:77], v[26:27], v[24:25]
	v_fma_f64 v[74:75], v[26:27], v[22:23], -v[30:31]
	v_fmac_f64_e32 v[76:77], v[28:29], v[22:23]
	s_waitcnt lgkmcnt(0)
	v_add_f64 v[22:23], v[10:11], v[14:15]
	v_add_f64 v[24:25], v[12:13], v[50:51]
	;; [unrolled: 1-line block ×4, first 2 shown]
	ds_read_b128 v[26:29], v70 offset:5184
	ds_read_b128 v[30:33], v70 offset:10368
	s_waitcnt lgkmcnt(0)
	s_barrier
	ds_write_b128 v70, v[22:25]
	v_add_f64 v[22:23], v[14:15], v[52:53]
	v_fmac_f64_e32 v[10:11], -0.5, v[22:23]
	v_add_f64 v[24:25], v[50:51], -v[54:55]
	v_fma_f64 v[22:23], s[2:3], v[24:25], v[10:11]
	v_fmac_f64_e32 v[10:11], s[6:7], v[24:25]
	v_add_f64 v[24:25], v[50:51], v[54:55]
	v_fmac_f64_e32 v[12:13], -0.5, v[24:25]
	v_add_f64 v[14:15], v[14:15], -v[52:53]
	v_fma_f64 v[24:25], s[6:7], v[14:15], v[12:13]
	v_fmac_f64_e32 v[12:13], s[2:3], v[14:15]
	v_add_f64 v[14:15], v[26:27], v[56:57]
	v_add_f64 v[38:39], v[14:15], v[44:45]
	;; [unrolled: 1-line block ×5, first 2 shown]
	v_fmac_f64_e32 v[26:27], -0.5, v[34:35]
	v_fmac_f64_e32 v[28:29], -0.5, v[14:15]
	v_add_f64 v[14:15], v[56:57], -v[44:45]
	v_fma_f64 v[34:35], s[2:3], v[36:37], v[26:27]
	v_fmac_f64_e32 v[26:27], s[6:7], v[36:37]
	v_fma_f64 v[36:37], s[6:7], v[14:15], v[28:29]
	v_fmac_f64_e32 v[28:29], s[2:3], v[14:15]
	v_add_f64 v[14:15], v[30:31], v[58:59]
	v_add_f64 v[46:47], v[14:15], v[6:7]
	;; [unrolled: 1-line block ×6, first 2 shown]
	v_fmac_f64_e32 v[30:31], -0.5, v[42:43]
	v_add_f64 v[44:45], v[60:61], -v[62:63]
	v_fmac_f64_e32 v[32:33], -0.5, v[14:15]
	v_add_f64 v[6:7], v[58:59], -v[6:7]
	v_fma_f64 v[42:43], s[2:3], v[44:45], v[30:31]
	v_fmac_f64_e32 v[30:31], s[6:7], v[44:45]
	v_fma_f64 v[44:45], s[6:7], v[6:7], v[32:33]
	v_fmac_f64_e32 v[32:33], s[2:3], v[6:7]
	v_add_f64 v[6:7], v[0:1], v[68:69]
	v_add_f64 v[54:55], v[6:7], v[74:75]
	;; [unrolled: 1-line block ×5, first 2 shown]
	v_fmac_f64_e32 v[2:3], -0.5, v[6:7]
	v_add_f64 v[6:7], v[68:69], -v[74:75]
	v_fma_f64 v[52:53], s[6:7], v[6:7], v[2:3]
	v_fmac_f64_e32 v[2:3], s[2:3], v[6:7]
	v_mov_b32_e32 v6, 0x5100
	v_cndmask_b32_e32 v6, 0, v6, vcc
	v_lshlrev_b32_e32 v7, 4, v17
	v_add3_u32 v6, 0, v6, v7
	v_add_f64 v[14:15], v[68:69], v[74:75]
	ds_write_b128 v70, v[22:25] offset:6912
	ds_write_b128 v70, v[10:13] offset:13824
	ds_write_b128 v6, v[38:41]
	ds_write_b128 v6, v[34:37] offset:6912
	ds_write_b128 v6, v[26:29] offset:13824
	v_mul_u32_u24_e32 v6, 0x5100, v19
	v_lshlrev_b32_e32 v7, 4, v21
	v_fmac_f64_e32 v[0:1], -0.5, v[14:15]
	v_add_f64 v[14:15], v[72:73], -v[76:77]
	v_add3_u32 v6, 0, v6, v7
	v_fma_f64 v[50:51], s[2:3], v[14:15], v[0:1]
	v_fmac_f64_e32 v[0:1], s[6:7], v[14:15]
	ds_write_b128 v6, v[46:49]
	ds_write_b128 v6, v[42:45] offset:6912
	ds_write_b128 v6, v[30:33] offset:13824
	v_lshl_add_u32 v6, v67, 4, 0
	ds_write_b128 v6, v[54:57] offset:41472
	ds_write_b128 v6, v[50:53] offset:48384
	;; [unrolled: 1-line block ×3, first 2 shown]
	v_add_co_u32_e32 v0, vcc, s10, v4
	s_waitcnt lgkmcnt(0)
	s_nop 0
	v_addc_co_u32_e32 v1, vcc, 0, v5, vcc
	s_barrier
	global_load_dwordx4 v[0:3], v[0:1], off
	v_lshl_add_u64 v[4:5], v[4:5], 0, s[8:9]
	global_load_dwordx4 v[4:7], v[4:5], off offset:16
	v_lshl_add_u64 v[14:15], v[8:9], 4, s[4:5]
	v_add_co_u32_e32 v10, vcc, s10, v14
	v_lshlrev_b32_e32 v8, 1, v20
	s_nop 0
	v_addc_co_u32_e32 v11, vcc, 0, v15, vcc
	global_load_dwordx4 v[10:13], v[10:11], off
	v_lshl_add_u64 v[14:15], v[14:15], 0, s[8:9]
	global_load_dwordx4 v[22:25], v[14:15], off offset:16
	v_lshl_add_u64 v[14:15], v[8:9], 4, s[4:5]
	v_add_co_u32_e32 v34, vcc, s10, v14
	v_lshlrev_b32_e32 v8, 1, v18
	s_nop 0
	v_addc_co_u32_e32 v35, vcc, 0, v15, vcc
	v_lshl_add_u64 v[14:15], v[14:15], 0, s[8:9]
	global_load_dwordx4 v[26:29], v[34:35], off
	global_load_dwordx4 v[30:33], v[14:15], off offset:16
	v_lshl_add_u64 v[14:15], v[8:9], 4, s[4:5]
	v_add_co_u32_e32 v34, vcc, s10, v14
	s_nop 1
	v_addc_co_u32_e32 v35, vcc, 0, v15, vcc
	global_load_dwordx4 v[34:37], v[34:35], off
	v_lshl_add_u64 v[14:15], v[14:15], 0, s[8:9]
	global_load_dwordx4 v[38:41], v[14:15], off offset:16
	ds_read_b128 v[42:45], v70 offset:20736
	ds_read_b128 v[46:49], v70 offset:15552
	;; [unrolled: 1-line block ×3, first 2 shown]
	v_cmp_ne_u32_e32 vcc, 0, v66
	s_waitcnt vmcnt(7) lgkmcnt(2)
	v_mul_f64 v[14:15], v[44:45], v[2:3]
	v_mul_f64 v[54:55], v[42:43], v[2:3]
	v_fma_f64 v[14:15], v[42:43], v[0:1], -v[14:15]
	v_fmac_f64_e32 v[54:55], v[44:45], v[0:1]
	ds_read_b128 v[0:3], v70 offset:36288
	ds_read_b128 v[42:45], v70 offset:25920
	s_waitcnt vmcnt(6) lgkmcnt(2)
	v_mul_f64 v[56:57], v[52:53], v[6:7]
	v_mul_f64 v[58:59], v[50:51], v[6:7]
	v_fma_f64 v[56:57], v[50:51], v[4:5], -v[56:57]
	v_fmac_f64_e32 v[58:59], v[52:53], v[4:5]
	ds_read_b128 v[4:7], v70 offset:31104
	ds_read_b128 v[50:53], v70 offset:46656
	s_waitcnt vmcnt(5) lgkmcnt(2)
	v_mul_f64 v[60:61], v[44:45], v[12:13]
	v_fma_f64 v[60:61], v[42:43], v[10:11], -v[60:61]
	v_mul_f64 v[42:43], v[42:43], v[12:13]
	v_fmac_f64_e32 v[42:43], v[44:45], v[10:11]
	ds_read_b128 v[10:13], v70 offset:51840
	s_waitcnt vmcnt(4) lgkmcnt(1)
	v_mul_f64 v[44:45], v[52:53], v[24:25]
	v_fma_f64 v[44:45], v[50:51], v[22:23], -v[44:45]
	v_mul_f64 v[50:51], v[50:51], v[24:25]
	v_fmac_f64_e32 v[50:51], v[52:53], v[22:23]
	s_waitcnt vmcnt(3)
	v_mul_f64 v[22:23], v[6:7], v[28:29]
	v_fma_f64 v[52:53], v[4:5], v[26:27], -v[22:23]
	v_mul_f64 v[62:63], v[4:5], v[28:29]
	s_waitcnt vmcnt(2) lgkmcnt(0)
	v_mul_f64 v[4:5], v[12:13], v[32:33]
	v_fmac_f64_e32 v[62:63], v[6:7], v[26:27]
	v_fma_f64 v[68:69], v[10:11], v[30:31], -v[4:5]
	ds_read_b128 v[4:7], v70 offset:57024
	v_mul_f64 v[72:73], v[10:11], v[32:33]
	s_waitcnt vmcnt(1)
	v_mul_f64 v[10:11], v[2:3], v[36:37]
	v_mul_f64 v[76:77], v[0:1], v[36:37]
	v_fma_f64 v[74:75], v[0:1], v[34:35], -v[10:11]
	v_fmac_f64_e32 v[76:77], v[2:3], v[34:35]
	ds_read_b128 v[0:3], v70
	ds_read_b128 v[22:25], v70 offset:5184
	ds_read_b128 v[26:29], v70 offset:10368
	s_waitcnt vmcnt(0) lgkmcnt(3)
	v_mul_f64 v[80:81], v[4:5], v[40:41]
	v_mul_f64 v[10:11], v[6:7], v[40:41]
	v_fmac_f64_e32 v[80:81], v[6:7], v[38:39]
	v_add_f64 v[6:7], v[14:15], v[56:57]
	v_fmac_f64_e32 v[72:73], v[12:13], v[30:31]
	v_fma_f64 v[78:79], v[4:5], v[38:39], -v[10:11]
	s_waitcnt lgkmcnt(2)
	v_add_f64 v[4:5], v[0:1], v[14:15]
	v_fmac_f64_e32 v[0:1], -0.5, v[6:7]
	v_add_f64 v[6:7], v[54:55], -v[58:59]
	v_add_f64 v[12:13], v[54:55], v[58:59]
	v_fma_f64 v[10:11], s[2:3], v[6:7], v[0:1]
	v_fmac_f64_e32 v[0:1], s[6:7], v[6:7]
	v_add_f64 v[6:7], v[2:3], v[54:55]
	v_fmac_f64_e32 v[2:3], -0.5, v[12:13]
	v_add_f64 v[14:15], v[14:15], -v[56:57]
	v_fma_f64 v[12:13], s[6:7], v[14:15], v[2:3]
	v_fmac_f64_e32 v[2:3], s[2:3], v[14:15]
	s_waitcnt lgkmcnt(1)
	v_add_f64 v[14:15], v[22:23], v[60:61]
	v_add_f64 v[34:35], v[14:15], v[44:45]
	v_add_f64 v[14:15], v[24:25], v[42:43]
	v_add_f64 v[30:31], v[60:61], v[44:45]
	v_add_f64 v[36:37], v[14:15], v[50:51]
	v_add_f64 v[14:15], v[42:43], v[50:51]
	v_fmac_f64_e32 v[22:23], -0.5, v[30:31]
	v_add_f64 v[32:33], v[42:43], -v[50:51]
	v_fmac_f64_e32 v[24:25], -0.5, v[14:15]
	v_add_f64 v[14:15], v[60:61], -v[44:45]
	v_fma_f64 v[30:31], s[2:3], v[32:33], v[22:23]
	v_fmac_f64_e32 v[22:23], s[6:7], v[32:33]
	v_fma_f64 v[32:33], s[6:7], v[14:15], v[24:25]
	v_fmac_f64_e32 v[24:25], s[2:3], v[14:15]
	s_waitcnt lgkmcnt(0)
	v_add_f64 v[14:15], v[26:27], v[52:53]
	v_add_f64 v[42:43], v[14:15], v[68:69]
	;; [unrolled: 1-line block ×6, first 2 shown]
	v_fmac_f64_e32 v[26:27], -0.5, v[38:39]
	v_add_f64 v[40:41], v[62:63], -v[72:73]
	v_fmac_f64_e32 v[28:29], -0.5, v[14:15]
	v_add_f64 v[14:15], v[52:53], -v[68:69]
	v_fma_f64 v[38:39], s[2:3], v[40:41], v[26:27]
	v_fmac_f64_e32 v[26:27], s[6:7], v[40:41]
	v_fma_f64 v[40:41], s[6:7], v[14:15], v[28:29]
	v_fmac_f64_e32 v[28:29], s[2:3], v[14:15]
	v_add_f64 v[14:15], v[46:47], v[74:75]
	v_add_f64 v[54:55], v[14:15], v[78:79]
	;; [unrolled: 1-line block ×8, first 2 shown]
	v_fmac_f64_e32 v[46:47], -0.5, v[50:51]
	v_add_f64 v[52:53], v[76:77], -v[80:81]
	v_fmac_f64_e32 v[48:49], -0.5, v[14:15]
	v_add_f64 v[14:15], v[74:75], -v[78:79]
	v_fma_f64 v[50:51], s[2:3], v[52:53], v[46:47]
	v_fmac_f64_e32 v[46:47], s[6:7], v[52:53]
	v_fma_f64 v[52:53], s[6:7], v[14:15], v[48:49]
	v_fmac_f64_e32 v[48:49], s[2:3], v[14:15]
	s_barrier
	ds_write_b128 v70, v[4:7]
	ds_write_b128 v70, v[10:13] offset:20736
	ds_write_b128 v70, v[0:3] offset:41472
	;; [unrolled: 1-line block ×11, first 2 shown]
	s_waitcnt lgkmcnt(0)
	s_barrier
	ds_read_b128 v[4:7], v70
	s_add_u32 s2, s4, 0xf200
	v_lshlrev_b32_e32 v0, 4, v66
	s_addc_u32 s3, s5, 0
	v_sub_u32_e32 v8, 0, v0
                                        ; implicit-def: $vgpr0_vgpr1
                                        ; implicit-def: $vgpr10_vgpr11
                                        ; implicit-def: $vgpr12_vgpr13
	s_and_saveexec_b64 s[4:5], vcc
	s_xor_b64 s[4:5], exec, s[4:5]
	s_cbranch_execz .LBB0_15
; %bb.14:
	v_mov_b32_e32 v67, v9
	v_lshl_add_u64 v[0:1], v[66:67], 4, s[2:3]
	global_load_dwordx4 v[22:25], v[0:1], off
	ds_read_b128 v[0:3], v8 offset:62208
	s_waitcnt lgkmcnt(0)
	v_add_f64 v[14:15], v[4:5], v[0:1]
	v_add_f64 v[0:1], v[4:5], -v[0:1]
	v_add_f64 v[10:11], v[6:7], v[2:3]
	v_add_f64 v[2:3], v[6:7], -v[2:3]
	v_mul_f64 v[6:7], v[0:1], 0.5
	v_mul_f64 v[4:5], v[10:11], 0.5
	;; [unrolled: 1-line block ×3, first 2 shown]
	s_waitcnt vmcnt(0)
	v_mul_f64 v[2:3], v[6:7], v[24:25]
	v_fma_f64 v[12:13], v[4:5], v[24:25], v[0:1]
	v_fma_f64 v[24:25], v[4:5], v[24:25], -v[0:1]
	v_fma_f64 v[10:11], 0.5, v[14:15], v[2:3]
	v_fma_f64 v[0:1], v[14:15], 0.5, -v[2:3]
	v_fma_f64 v[12:13], -v[22:23], v[6:7], v[12:13]
	v_fmac_f64_e32 v[10:11], v[4:5], v[22:23]
	v_fma_f64 v[0:1], -v[4:5], v[22:23], v[0:1]
	v_fma_f64 v[2:3], -v[22:23], v[6:7], v[24:25]
                                        ; implicit-def: $vgpr4_vgpr5
.LBB0_15:
	s_andn2_saveexec_b64 s[4:5], s[4:5]
	s_cbranch_execz .LBB0_17
; %bb.16:
	v_mov_b32_e32 v9, 0
	ds_read_b64 v[2:3], v9 offset:31112
	v_mov_b64_e32 v[12:13], 0
	s_waitcnt lgkmcnt(1)
	v_add_f64 v[10:11], v[4:5], v[6:7]
	v_add_f64 v[0:1], v[4:5], -v[6:7]
	s_waitcnt lgkmcnt(0)
	v_xor_b32_e32 v3, 0x80000000, v3
	ds_write_b64 v9, v[2:3] offset:31112
	v_mov_b64_e32 v[2:3], v[12:13]
.LBB0_17:
	s_or_b64 exec, exec, s[4:5]
	v_mov_b32_e32 v17, 0
	s_waitcnt lgkmcnt(0)
	v_lshl_add_u64 v[4:5], v[16:17], 4, s[2:3]
	global_load_dwordx4 v[4:7], v[4:5], off
	v_mov_b32_e32 v21, v17
	v_lshl_add_u64 v[14:15], v[20:21], 4, s[2:3]
	global_load_dwordx4 v[20:23], v[14:15], off
	v_mov_b32_e32 v19, v17
	v_lshl_add_u64 v[14:15], v[18:19], 4, s[2:3]
	global_load_dwordx4 v[24:27], v[14:15], off
	v_add_u32_e32 v16, 0x510, v66
	ds_write2_b64 v70, v[10:11], v[12:13] offset1:1
	ds_write_b128 v8, v[0:3] offset:62208
	v_lshl_add_u64 v[14:15], v[16:17], 4, s[2:3]
	ds_read_b128 v[0:3], v70 offset:5184
	ds_read_b128 v[10:13], v8 offset:57024
	global_load_dwordx4 v[28:31], v[14:15], off
	v_add_u32_e32 v9, 0x1000, v70
	v_add_u32_e32 v16, 0x654, v66
	s_waitcnt lgkmcnt(0)
	v_add_f64 v[14:15], v[0:1], v[10:11]
	v_add_f64 v[0:1], v[0:1], -v[10:11]
	v_add_f64 v[18:19], v[2:3], v[12:13]
	v_add_f64 v[2:3], v[2:3], -v[12:13]
	v_mul_f64 v[0:1], v[0:1], 0.5
	v_mul_f64 v[10:11], v[18:19], 0.5
	;; [unrolled: 1-line block ×3, first 2 shown]
	s_waitcnt vmcnt(3)
	v_mul_f64 v[12:13], v[0:1], v[6:7]
	v_fma_f64 v[18:19], v[10:11], v[6:7], v[2:3]
	v_fma_f64 v[2:3], v[10:11], v[6:7], -v[2:3]
	v_fma_f64 v[6:7], 0.5, v[14:15], v[12:13]
	v_fma_f64 v[18:19], -v[4:5], v[0:1], v[18:19]
	v_fma_f64 v[12:13], v[14:15], 0.5, -v[12:13]
	v_fmac_f64_e32 v[6:7], v[10:11], v[4:5]
	v_fma_f64 v[2:3], -v[4:5], v[0:1], v[2:3]
	v_fma_f64 v[0:1], -v[10:11], v[4:5], v[12:13]
	ds_write2_b64 v9, v[6:7], v[18:19] offset0:136 offset1:137
	ds_write_b128 v8, v[0:3] offset:57024
	v_lshl_add_u64 v[10:11], v[16:17], 4, s[2:3]
	ds_read_b128 v[0:3], v70 offset:10368
	ds_read_b128 v[4:7], v8 offset:51840
	global_load_dwordx4 v[10:13], v[10:11], off
	v_add_u32_e32 v9, 0x2800, v70
	s_waitcnt lgkmcnt(0)
	v_add_f64 v[14:15], v[0:1], v[4:5]
	v_add_f64 v[0:1], v[0:1], -v[4:5]
	v_add_f64 v[18:19], v[2:3], v[6:7]
	v_add_f64 v[2:3], v[2:3], -v[6:7]
	v_mul_f64 v[0:1], v[0:1], 0.5
	v_mul_f64 v[4:5], v[18:19], 0.5
	;; [unrolled: 1-line block ×3, first 2 shown]
	s_waitcnt vmcnt(3)
	v_mul_f64 v[6:7], v[0:1], v[22:23]
	v_fma_f64 v[18:19], v[4:5], v[22:23], v[2:3]
	v_fma_f64 v[2:3], v[4:5], v[22:23], -v[2:3]
	v_fma_f64 v[22:23], 0.5, v[14:15], v[6:7]
	v_fma_f64 v[18:19], -v[20:21], v[0:1], v[18:19]
	v_fma_f64 v[6:7], v[14:15], 0.5, -v[6:7]
	v_fmac_f64_e32 v[22:23], v[4:5], v[20:21]
	v_fma_f64 v[2:3], -v[20:21], v[0:1], v[2:3]
	v_fma_f64 v[0:1], -v[4:5], v[20:21], v[6:7]
	ds_write2_b64 v9, v[22:23], v[18:19] offset0:16 offset1:17
	ds_write_b128 v8, v[0:3] offset:51840
	ds_read_b128 v[0:3], v70 offset:15552
	ds_read_b128 v[4:7], v8 offset:46656
	v_add_u32_e32 v9, 0x3800, v70
	s_waitcnt lgkmcnt(0)
	v_add_f64 v[14:15], v[0:1], v[4:5]
	v_add_f64 v[0:1], v[0:1], -v[4:5]
	v_add_f64 v[18:19], v[2:3], v[6:7]
	v_add_f64 v[2:3], v[2:3], -v[6:7]
	v_mul_f64 v[0:1], v[0:1], 0.5
	v_mul_f64 v[4:5], v[18:19], 0.5
	;; [unrolled: 1-line block ×3, first 2 shown]
	s_waitcnt vmcnt(2)
	v_mul_f64 v[6:7], v[0:1], v[26:27]
	v_fma_f64 v[18:19], v[4:5], v[26:27], v[2:3]
	v_fma_f64 v[20:21], 0.5, v[14:15], v[6:7]
	v_fma_f64 v[2:3], v[4:5], v[26:27], -v[2:3]
	v_fma_f64 v[18:19], -v[24:25], v[0:1], v[18:19]
	v_fma_f64 v[6:7], v[14:15], 0.5, -v[6:7]
	v_fmac_f64_e32 v[20:21], v[4:5], v[24:25]
	v_fma_f64 v[2:3], -v[24:25], v[0:1], v[2:3]
	v_fma_f64 v[0:1], -v[4:5], v[24:25], v[6:7]
	ds_write2_b64 v9, v[20:21], v[18:19] offset0:152 offset1:153
	ds_write_b128 v8, v[0:3] offset:46656
	ds_read_b128 v[0:3], v70 offset:20736
	ds_read_b128 v[4:7], v8 offset:41472
	v_add_u32_e32 v9, 0x5000, v70
	s_waitcnt lgkmcnt(0)
	v_add_f64 v[14:15], v[0:1], v[4:5]
	v_add_f64 v[0:1], v[0:1], -v[4:5]
	v_add_f64 v[18:19], v[2:3], v[6:7]
	v_add_f64 v[2:3], v[2:3], -v[6:7]
	v_mul_f64 v[0:1], v[0:1], 0.5
	v_mul_f64 v[4:5], v[18:19], 0.5
	;; [unrolled: 1-line block ×3, first 2 shown]
	s_waitcnt vmcnt(1)
	v_mul_f64 v[6:7], v[0:1], v[30:31]
	v_fma_f64 v[18:19], v[4:5], v[30:31], v[2:3]
	v_fma_f64 v[20:21], 0.5, v[14:15], v[6:7]
	v_fma_f64 v[2:3], v[4:5], v[30:31], -v[2:3]
	v_fma_f64 v[18:19], -v[28:29], v[0:1], v[18:19]
	v_fma_f64 v[6:7], v[14:15], 0.5, -v[6:7]
	v_fmac_f64_e32 v[20:21], v[4:5], v[28:29]
	v_fma_f64 v[2:3], -v[28:29], v[0:1], v[2:3]
	v_fma_f64 v[0:1], -v[4:5], v[28:29], v[6:7]
	ds_write2_b64 v9, v[20:21], v[18:19] offset0:32 offset1:33
	ds_write_b128 v8, v[0:3] offset:41472
	ds_read_b128 v[0:3], v70 offset:25920
	ds_read_b128 v[4:7], v8 offset:36288
	v_add_u32_e32 v9, 0x6000, v70
	s_waitcnt lgkmcnt(0)
	v_add_f64 v[14:15], v[0:1], v[4:5]
	v_add_f64 v[0:1], v[0:1], -v[4:5]
	v_add_f64 v[18:19], v[2:3], v[6:7]
	v_add_f64 v[2:3], v[2:3], -v[6:7]
	v_mul_f64 v[0:1], v[0:1], 0.5
	v_mul_f64 v[4:5], v[18:19], 0.5
	v_mul_f64 v[2:3], v[2:3], 0.5
	s_waitcnt vmcnt(0)
	v_mul_f64 v[6:7], v[0:1], v[12:13]
	v_fma_f64 v[18:19], v[4:5], v[12:13], v[2:3]
	v_fma_f64 v[2:3], v[4:5], v[12:13], -v[2:3]
	v_fma_f64 v[12:13], 0.5, v[14:15], v[6:7]
	v_fma_f64 v[18:19], -v[10:11], v[0:1], v[18:19]
	v_fma_f64 v[6:7], v[14:15], 0.5, -v[6:7]
	v_fmac_f64_e32 v[12:13], v[4:5], v[10:11]
	v_fma_f64 v[2:3], -v[10:11], v[0:1], v[2:3]
	v_fma_f64 v[0:1], -v[4:5], v[10:11], v[6:7]
	ds_write2_b64 v9, v[12:13], v[18:19] offset0:168 offset1:169
	ds_write_b128 v8, v[0:3] offset:36288
	s_waitcnt lgkmcnt(0)
	s_barrier
	s_and_saveexec_b64 s[2:3], s[0:1]
	s_cbranch_execz .LBB0_20
; %bb.18:
	ds_read_b128 v[0:3], v70
	v_mov_b32_e32 v67, v17
	ds_read_b128 v[4:7], v70 offset:5184
	ds_read_b128 v[8:11], v70 offset:57024
	v_lshl_add_u64 v[12:13], v[66:67], 4, v[64:65]
	v_add_co_u32_e32 v14, vcc, 0x1000, v12
	s_waitcnt lgkmcnt(2)
	global_store_dwordx4 v[12:13], v[0:3], off
	ds_read_b128 v[0:3], v70 offset:10368
	v_addc_co_u32_e32 v15, vcc, 0, v13, vcc
	s_waitcnt lgkmcnt(2)
	global_store_dwordx4 v[14:15], v[4:7], off offset:1088
	s_movk_i32 s0, 0x143
	s_nop 0
	v_add_co_u32_e32 v4, vcc, 0x2000, v12
	s_nop 1
	v_addc_co_u32_e32 v5, vcc, 0, v13, vcc
	s_waitcnt lgkmcnt(0)
	global_store_dwordx4 v[4:5], v[0:3], off offset:2176
	ds_read_b128 v[0:3], v70 offset:15552
	ds_read_b128 v[4:7], v70 offset:20736
	v_add_co_u32_e32 v14, vcc, 0x3000, v12
	s_nop 1
	v_addc_co_u32_e32 v15, vcc, 0, v13, vcc
	s_waitcnt lgkmcnt(1)
	global_store_dwordx4 v[14:15], v[0:3], off offset:3264
	s_nop 1
	v_add_co_u32_e32 v0, vcc, 0x5000, v12
	s_nop 1
	v_addc_co_u32_e32 v1, vcc, 0, v13, vcc
	s_waitcnt lgkmcnt(0)
	global_store_dwordx4 v[0:1], v[4:7], off offset:256
	ds_read_b128 v[0:3], v70 offset:25920
	ds_read_b128 v[4:7], v70 offset:31104
	v_add_co_u32_e32 v14, vcc, 0x6000, v12
	s_nop 1
	v_addc_co_u32_e32 v15, vcc, 0, v13, vcc
	s_waitcnt lgkmcnt(1)
	global_store_dwordx4 v[14:15], v[0:3], off offset:1344
	;; [unrolled: 13-line block ×4, first 2 shown]
	s_nop 1
	v_add_co_u32_e32 v0, vcc, 0xc000, v12
	s_nop 1
	v_addc_co_u32_e32 v1, vcc, 0, v13, vcc
	s_waitcnt lgkmcnt(0)
	global_store_dwordx4 v[0:1], v[4:7], off offset:2688
	v_add_co_u32_e32 v0, vcc, 0xd000, v12
	s_nop 1
	v_addc_co_u32_e32 v1, vcc, 0, v13, vcc
	v_cmp_eq_u32_e32 vcc, s0, v66
	global_store_dwordx4 v[0:1], v[8:11], off offset:3776
	s_and_b64 exec, exec, vcc
	s_cbranch_execz .LBB0_20
; %bb.19:
	v_mov_b32_e32 v0, 0
	ds_read_b128 v[0:3], v0 offset:62208
	v_add_co_u32_e32 v4, vcc, 0xf000, v64
	s_nop 1
	v_addc_co_u32_e32 v5, vcc, 0, v65, vcc
	s_waitcnt lgkmcnt(0)
	global_store_dwordx4 v[4:5], v[0:3], off offset:768
.LBB0_20:
	s_endpgm
	.section	.rodata,"a",@progbits
	.p2align	6, 0x0
	.amdhsa_kernel fft_rtc_fwd_len3888_factors_16_3_3_3_3_3_wgs_324_tpt_324_halfLds_dp_ip_CI_unitstride_sbrr_R2C_dirReg
		.amdhsa_group_segment_fixed_size 0
		.amdhsa_private_segment_fixed_size 0
		.amdhsa_kernarg_size 88
		.amdhsa_user_sgpr_count 2
		.amdhsa_user_sgpr_dispatch_ptr 0
		.amdhsa_user_sgpr_queue_ptr 0
		.amdhsa_user_sgpr_kernarg_segment_ptr 1
		.amdhsa_user_sgpr_dispatch_id 0
		.amdhsa_user_sgpr_kernarg_preload_length 0
		.amdhsa_user_sgpr_kernarg_preload_offset 0
		.amdhsa_user_sgpr_private_segment_size 0
		.amdhsa_uses_dynamic_stack 0
		.amdhsa_enable_private_segment 0
		.amdhsa_system_sgpr_workgroup_id_x 1
		.amdhsa_system_sgpr_workgroup_id_y 0
		.amdhsa_system_sgpr_workgroup_id_z 0
		.amdhsa_system_sgpr_workgroup_info 0
		.amdhsa_system_vgpr_workitem_id 0
		.amdhsa_next_free_vgpr 90
		.amdhsa_next_free_sgpr 22
		.amdhsa_accum_offset 92
		.amdhsa_reserve_vcc 1
		.amdhsa_float_round_mode_32 0
		.amdhsa_float_round_mode_16_64 0
		.amdhsa_float_denorm_mode_32 3
		.amdhsa_float_denorm_mode_16_64 3
		.amdhsa_dx10_clamp 1
		.amdhsa_ieee_mode 1
		.amdhsa_fp16_overflow 0
		.amdhsa_tg_split 0
		.amdhsa_exception_fp_ieee_invalid_op 0
		.amdhsa_exception_fp_denorm_src 0
		.amdhsa_exception_fp_ieee_div_zero 0
		.amdhsa_exception_fp_ieee_overflow 0
		.amdhsa_exception_fp_ieee_underflow 0
		.amdhsa_exception_fp_ieee_inexact 0
		.amdhsa_exception_int_div_zero 0
	.end_amdhsa_kernel
	.text
.Lfunc_end0:
	.size	fft_rtc_fwd_len3888_factors_16_3_3_3_3_3_wgs_324_tpt_324_halfLds_dp_ip_CI_unitstride_sbrr_R2C_dirReg, .Lfunc_end0-fft_rtc_fwd_len3888_factors_16_3_3_3_3_3_wgs_324_tpt_324_halfLds_dp_ip_CI_unitstride_sbrr_R2C_dirReg
                                        ; -- End function
	.section	.AMDGPU.csdata,"",@progbits
; Kernel info:
; codeLenInByte = 10436
; NumSgprs: 28
; NumVgprs: 90
; NumAgprs: 0
; TotalNumVgprs: 90
; ScratchSize: 0
; MemoryBound: 0
; FloatMode: 240
; IeeeMode: 1
; LDSByteSize: 0 bytes/workgroup (compile time only)
; SGPRBlocks: 3
; VGPRBlocks: 11
; NumSGPRsForWavesPerEU: 28
; NumVGPRsForWavesPerEU: 90
; AccumOffset: 92
; Occupancy: 5
; WaveLimiterHint : 1
; COMPUTE_PGM_RSRC2:SCRATCH_EN: 0
; COMPUTE_PGM_RSRC2:USER_SGPR: 2
; COMPUTE_PGM_RSRC2:TRAP_HANDLER: 0
; COMPUTE_PGM_RSRC2:TGID_X_EN: 1
; COMPUTE_PGM_RSRC2:TGID_Y_EN: 0
; COMPUTE_PGM_RSRC2:TGID_Z_EN: 0
; COMPUTE_PGM_RSRC2:TIDIG_COMP_CNT: 0
; COMPUTE_PGM_RSRC3_GFX90A:ACCUM_OFFSET: 22
; COMPUTE_PGM_RSRC3_GFX90A:TG_SPLIT: 0
	.text
	.p2alignl 6, 3212836864
	.fill 256, 4, 3212836864
	.type	__hip_cuid_86425a3e6f0dbd9d,@object ; @__hip_cuid_86425a3e6f0dbd9d
	.section	.bss,"aw",@nobits
	.globl	__hip_cuid_86425a3e6f0dbd9d
__hip_cuid_86425a3e6f0dbd9d:
	.byte	0                               ; 0x0
	.size	__hip_cuid_86425a3e6f0dbd9d, 1

	.ident	"AMD clang version 19.0.0git (https://github.com/RadeonOpenCompute/llvm-project roc-6.4.0 25133 c7fe45cf4b819c5991fe208aaa96edf142730f1d)"
	.section	".note.GNU-stack","",@progbits
	.addrsig
	.addrsig_sym __hip_cuid_86425a3e6f0dbd9d
	.amdgpu_metadata
---
amdhsa.kernels:
  - .agpr_count:     0
    .args:
      - .actual_access:  read_only
        .address_space:  global
        .offset:         0
        .size:           8
        .value_kind:     global_buffer
      - .offset:         8
        .size:           8
        .value_kind:     by_value
      - .actual_access:  read_only
        .address_space:  global
        .offset:         16
        .size:           8
        .value_kind:     global_buffer
      - .actual_access:  read_only
        .address_space:  global
        .offset:         24
        .size:           8
        .value_kind:     global_buffer
      - .offset:         32
        .size:           8
        .value_kind:     by_value
      - .actual_access:  read_only
        .address_space:  global
        .offset:         40
        .size:           8
        .value_kind:     global_buffer
      - .actual_access:  read_only
        .address_space:  global
        .offset:         48
        .size:           8
        .value_kind:     global_buffer
      - .offset:         56
        .size:           4
        .value_kind:     by_value
      - .actual_access:  read_only
        .address_space:  global
        .offset:         64
        .size:           8
        .value_kind:     global_buffer
      - .actual_access:  read_only
        .address_space:  global
        .offset:         72
        .size:           8
        .value_kind:     global_buffer
      - .address_space:  global
        .offset:         80
        .size:           8
        .value_kind:     global_buffer
    .group_segment_fixed_size: 0
    .kernarg_segment_align: 8
    .kernarg_segment_size: 88
    .language:       OpenCL C
    .language_version:
      - 2
      - 0
    .max_flat_workgroup_size: 324
    .name:           fft_rtc_fwd_len3888_factors_16_3_3_3_3_3_wgs_324_tpt_324_halfLds_dp_ip_CI_unitstride_sbrr_R2C_dirReg
    .private_segment_fixed_size: 0
    .sgpr_count:     28
    .sgpr_spill_count: 0
    .symbol:         fft_rtc_fwd_len3888_factors_16_3_3_3_3_3_wgs_324_tpt_324_halfLds_dp_ip_CI_unitstride_sbrr_R2C_dirReg.kd
    .uniform_work_group_size: 1
    .uses_dynamic_stack: false
    .vgpr_count:     90
    .vgpr_spill_count: 0
    .wavefront_size: 64
amdhsa.target:   amdgcn-amd-amdhsa--gfx950
amdhsa.version:
  - 1
  - 2
...

	.end_amdgpu_metadata
